;; amdgpu-corpus repo=ROCm/rocFFT kind=compiled arch=gfx1100 opt=O3
	.text
	.amdgcn_target "amdgcn-amd-amdhsa--gfx1100"
	.amdhsa_code_object_version 6
	.protected	bluestein_single_fwd_len6561_dim1_half_op_CI_CI ; -- Begin function bluestein_single_fwd_len6561_dim1_half_op_CI_CI
	.globl	bluestein_single_fwd_len6561_dim1_half_op_CI_CI
	.p2align	8
	.type	bluestein_single_fwd_len6561_dim1_half_op_CI_CI,@function
bluestein_single_fwd_len6561_dim1_half_op_CI_CI: ; @bluestein_single_fwd_len6561_dim1_half_op_CI_CI
; %bb.0:
	s_load_b128 s[16:19], s[0:1], 0x28
	v_mul_u32_u24_e32 v1, 0x10e, v0
	s_mov_b32 s2, exec_lo
	v_mov_b32_e32 v5, 0
	s_delay_alu instid0(VALU_DEP_2) | instskip(NEXT) | instid1(VALU_DEP_1)
	v_lshrrev_b32_e32 v1, 16, v1
	v_add_nc_u32_e32 v4, s15, v1
	s_waitcnt lgkmcnt(0)
	s_delay_alu instid0(VALU_DEP_1)
	v_cmpx_gt_u64_e64 s[16:17], v[4:5]
	s_cbranch_execz .LBB0_2
; %bb.1:
	s_clause 0x1
	s_load_b128 s[8:11], s[0:1], 0x18
	s_load_b128 s[4:7], s[0:1], 0x0
	v_mul_lo_u16 v1, 0xf3, v1
	s_load_b64 s[0:1], s[0:1], 0x38
	s_delay_alu instid0(VALU_DEP_1) | instskip(NEXT) | instid1(VALU_DEP_1)
	v_sub_nc_u16 v1, v0, v1
	v_dual_mov_b32 v0, v4 :: v_dual_and_b32 v147, 0xffff, v1
	v_and_b32_e32 v59, 0xff, v1
	scratch_store_b64 off, v[0:1], off offset:176 ; 8-byte Folded Spill
	v_add_co_u32 v85, null, 0xf3, v147
	v_add_co_u32 v84, null, 0x1e6, v147
	s_waitcnt lgkmcnt(0)
	s_load_b128 s[12:15], s[8:9], 0x0
	v_add_co_u32 v98, null, 0x2d9, v147
	v_add_co_u32 v115, null, 0x3cc, v147
	;; [unrolled: 1-line block ×6, first 2 shown]
	v_and_b32_e32 v58, 0xffff, v85
	v_and_b32_e32 v77, 0xffff, v84
	;; [unrolled: 1-line block ×6, first 2 shown]
	s_waitcnt lgkmcnt(0)
	v_mad_u64_u32 v[2:3], null, s14, v4, 0
	v_mad_u64_u32 v[4:5], null, s12, v147, 0
	s_mul_hi_u32 s8, s12, 0x222c
	s_mul_i32 s3, s12, 0x222c
	s_mul_hi_u32 s9, s12, 0xffffbf74
	s_delay_alu instid0(SALU_CYCLE_1) | instskip(NEXT) | instid1(VALU_DEP_1)
	s_sub_i32 s9, s9, s12
	v_mad_u64_u32 v[6:7], null, s15, v0, v[3:4]
	s_delay_alu instid0(VALU_DEP_1) | instskip(NEXT) | instid1(VALU_DEP_3)
	v_dual_mov_b32 v3, v6 :: v_dual_lshlrev_b32 v122, 2, v147
	v_mad_u64_u32 v[7:8], null, s13, v147, v[5:6]
	s_delay_alu instid0(VALU_DEP_2) | instskip(NEXT) | instid1(VALU_DEP_1)
	v_add_co_u32 v193, s2, s4, v122
	v_add_co_ci_u32_e64 v194, null, s5, 0, s2
	s_mul_i32 s2, s13, 0x222c
	s_delay_alu instid0(VALU_DEP_2) | instskip(NEXT) | instid1(VALU_DEP_4)
	v_add_co_u32 v11, vcc_lo, 0x2000, v193
	v_mov_b32_e32 v5, v7
	v_lshlrev_b64 v[6:7], 2, v[2:3]
	v_add_co_ci_u32_e32 v12, vcc_lo, 0, v194, vcc_lo
	v_add_co_u32 v2, vcc_lo, 0x4000, v193
	v_add_co_ci_u32_e32 v3, vcc_lo, 0, v194, vcc_lo
	v_lshlrev_b64 v[4:5], 2, v[4:5]
	v_add_co_u32 v0, vcc_lo, s18, v6
	v_add_co_ci_u32_e32 v7, vcc_lo, s19, v7, vcc_lo
	s_add_i32 s2, s8, s2
	s_delay_alu instid0(VALU_DEP_2) | instskip(NEXT) | instid1(VALU_DEP_2)
	v_add_co_u32 v6, vcc_lo, v0, v4
	v_add_co_ci_u32_e32 v7, vcc_lo, v7, v5, vcc_lo
	s_clause 0x1
	global_load_b32 v178, v122, s[4:5]
	global_load_b32 v180, v122, s[4:5] offset:972
	v_add_co_u32 v8, vcc_lo, v6, s3
	v_add_co_ci_u32_e32 v9, vcc_lo, s2, v7, vcc_lo
	global_load_b32 v4, v[6:7], off
	v_add_co_u32 v7, vcc_lo, v8, s3
	global_load_b32 v6, v[8:9], off
	v_add_co_ci_u32_e32 v8, vcc_lo, s2, v9, vcc_lo
	s_mulk_i32 s13, 0xbf74
	s_mul_i32 s8, s12, 0xffffbf74
	s_add_i32 s9, s9, s13
	v_add_co_u32 v13, vcc_lo, v7, s8
	s_clause 0x1
	global_load_b32 v54, v[11:12], off offset:556
	global_load_b32 v53, v[2:3], off offset:1112
	v_add_co_ci_u32_e32 v14, vcc_lo, s9, v8, vcc_lo
	global_load_b32 v5, v[7:8], off
	global_load_b32 v50, v122, s[4:5] offset:1944
	global_load_b32 v10, v[13:14], off
	v_add_co_u32 v7, vcc_lo, v13, s3
	v_add_co_ci_u32_e32 v8, vcc_lo, s2, v14, vcc_lo
	global_load_b32 v51, v[11:12], off offset:1528
	global_load_b32 v9, v[7:8], off
	global_load_b32 v52, v[2:3], off offset:2084
	v_add_co_u32 v13, vcc_lo, v7, s3
	v_add_co_ci_u32_e32 v14, vcc_lo, s2, v8, vcc_lo
	v_add_nc_u32_e32 v179, 0x25e0, v122
	s_delay_alu instid0(VALU_DEP_3) | instskip(NEXT) | instid1(VALU_DEP_3)
	v_add_co_u32 v15, vcc_lo, v13, s8
	v_add_co_ci_u32_e32 v16, vcc_lo, s9, v14, vcc_lo
	global_load_b32 v7, v[13:14], off
	v_add_co_u32 v13, vcc_lo, v15, s3
	v_add_co_ci_u32_e32 v14, vcc_lo, s2, v16, vcc_lo
	global_load_b32 v49, v[11:12], off offset:2500
	global_load_b32 v8, v[13:14], off
	global_load_b32 v48, v122, s[4:5] offset:2916
	global_load_b32 v0, v[15:16], off
	global_load_b32 v47, v[2:3], off offset:3056
	v_add_co_u32 v13, vcc_lo, v13, s3
	v_add_co_ci_u32_e32 v14, vcc_lo, s2, v14, vcc_lo
	v_add_nc_u32_e32 v163, 0x2d80, v122
	s_delay_alu instid0(VALU_DEP_3) | instskip(NEXT) | instid1(VALU_DEP_3)
	v_add_co_u32 v15, vcc_lo, v13, s8
	v_add_co_ci_u32_e32 v16, vcc_lo, s9, v14, vcc_lo
	v_add_co_u32 v17, vcc_lo, 0x3000, v193
	v_add_co_ci_u32_e32 v18, vcc_lo, 0, v194, vcc_lo
	global_load_b32 v23, v[13:14], off
	global_load_b32 v46, v[11:12], off offset:3472
	global_load_b32 v24, v[15:16], off
	v_add_co_u32 v11, vcc_lo, v15, s3
	v_add_co_ci_u32_e32 v12, vcc_lo, s2, v16, vcc_lo
	global_load_b32 v43, v[17:18], off offset:348
	v_add_co_u32 v13, vcc_lo, v11, s3
	v_add_co_ci_u32_e32 v14, vcc_lo, s2, v12, vcc_lo
	global_load_b32 v25, v[11:12], off
	v_add_co_u32 v15, vcc_lo, v13, s8
	v_add_co_ci_u32_e32 v16, vcc_lo, s9, v14, vcc_lo
	global_load_b32 v45, v[2:3], off offset:4028
	v_add_co_u32 v11, vcc_lo, v15, s3
	v_add_co_ci_u32_e32 v12, vcc_lo, s2, v16, vcc_lo
	global_load_b32 v26, v[11:12], off
	global_load_b32 v27, v[13:14], off
	v_add_co_u32 v13, vcc_lo, 0x5000, v193
	v_add_co_ci_u32_e32 v14, vcc_lo, 0, v194, vcc_lo
	v_add_co_u32 v11, vcc_lo, v11, s3
	v_add_co_ci_u32_e32 v12, vcc_lo, s2, v12, vcc_lo
	global_load_b32 v42, v[13:14], off offset:904
	global_load_b32 v28, v[11:12], off
	global_load_b32 v44, v122, s[4:5] offset:3888
	global_load_b32 v29, v[15:16], off
	v_add_co_u32 v15, vcc_lo, 0x1000, v193
	v_add_co_ci_u32_e32 v16, vcc_lo, 0, v194, vcc_lo
	v_add_co_u32 v11, vcc_lo, v11, s8
	v_add_co_ci_u32_e32 v12, vcc_lo, s9, v12, vcc_lo
	global_load_b32 v41, v[15:16], off offset:764
	global_load_b32 v30, v[11:12], off
	v_add_co_u32 v11, vcc_lo, v11, s3
	v_add_co_ci_u32_e32 v12, vcc_lo, s2, v12, vcc_lo
	global_load_b32 v40, v[17:18], off offset:1320
	global_load_b32 v31, v[11:12], off
	v_add_co_u32 v11, vcc_lo, v11, s3
	v_add_co_ci_u32_e32 v12, vcc_lo, s2, v12, vcc_lo
	v_add_nc_u32_e32 v159, 0xf00, v122
	s_delay_alu instid0(VALU_DEP_3) | instskip(NEXT) | instid1(VALU_DEP_3)
	v_add_co_u32 v19, vcc_lo, v11, s8
	v_add_co_ci_u32_e32 v20, vcc_lo, s9, v12, vcc_lo
	v_add_nc_u32_e32 v149, 0x3500, v122
	s_delay_alu instid0(VALU_DEP_3) | instskip(NEXT) | instid1(VALU_DEP_3)
	v_add_co_u32 v21, vcc_lo, v19, s3
	v_add_co_ci_u32_e32 v22, vcc_lo, s2, v20, vcc_lo
	global_load_b32 v37, v[17:18], off offset:2292
	global_load_b32 v32, v[21:22], off
	global_load_b32 v39, v[13:14], off offset:1876
	global_load_b32 v33, v[11:12], off
	v_add_co_u32 v11, vcc_lo, v21, s3
	v_add_co_ci_u32_e32 v12, vcc_lo, s2, v22, vcc_lo
	global_load_b32 v36, v[13:14], off offset:2848
	global_load_b32 v21, v[11:12], off
	global_load_b32 v38, v[15:16], off offset:1736
	global_load_b32 v19, v[19:20], off
	v_add_co_u32 v11, vcc_lo, v11, s8
	v_add_co_ci_u32_e32 v12, vcc_lo, s9, v12, vcc_lo
	global_load_b32 v35, v[15:16], off offset:2708
	global_load_b32 v20, v[11:12], off
	s_clause 0x3
	global_load_b32 v34, v[17:18], off offset:3264
	global_load_b32 v17, v[2:3], off offset:140
	;; [unrolled: 1-line block ×4, first 2 shown]
	v_add_co_u32 v2, vcc_lo, v11, s3
	v_add_co_ci_u32_e32 v3, vcc_lo, s2, v12, vcc_lo
	v_add_nc_u32_e32 v144, 0x16c0, v122
	v_add_nc_u32_e32 v171, 0x3cc0, v122
	;; [unrolled: 1-line block ×8, first 2 shown]
	s_waitcnt vmcnt(47)
	v_lshrrev_b32_e32 v14, 16, v178
	s_waitcnt vmcnt(46)
	v_lshrrev_b32_e32 v56, 16, v180
	;; [unrolled: 2-line block ×3, first 2 shown]
	v_mul_f16_e32 v11, v14, v4
	s_delay_alu instid0(VALU_DEP_2) | instskip(SKIP_2) | instid1(VALU_DEP_3)
	v_mul_f16_e32 v12, v14, v13
	s_waitcnt vmcnt(44)
	v_lshrrev_b32_e32 v14, 16, v6
	v_fma_f16 v11, v178, v13, -v11
	s_delay_alu instid0(VALU_DEP_3)
	v_fmac_f16_e64 v12, v178, v4
	s_waitcnt vmcnt(43)
	v_lshrrev_b32_e32 v55, 16, v54
	s_waitcnt vmcnt(42)
	v_lshrrev_b32_e32 v16, 16, v53
	scratch_store_b32 off, v54, off offset:204 ; 4-byte Folded Spill
	s_waitcnt vmcnt(41)
	v_lshrrev_b32_e32 v13, 16, v5
	v_pack_b32_f16 v11, v12, v11
	v_mul_f16_e32 v15, v55, v6
	v_mul_f16_e32 v4, v55, v14
	s_waitcnt vmcnt(39)
	v_lshrrev_b32_e32 v12, 16, v10
	s_clause 0x1
	scratch_store_b32 off, v55, off offset:200
	scratch_store_b32 off, v50, off offset:156
	v_fma_f16 v14, v54, v14, -v15
	v_mul_f16_e32 v15, v16, v5
	v_fmac_f16_e32 v4, v54, v6
	v_mul_f16_e32 v6, v16, v13
	s_waitcnt vmcnt(36)
	v_lshrrev_b32_e32 v54, 16, v52
	s_clause 0x1
	scratch_store_b32 off, v53, off offset:196
	scratch_store_b32 off, v16, off offset:192
	v_mul_f16_e32 v16, v56, v10
	v_fma_f16 v13, v53, v13, -v15
	s_clause 0x1
	scratch_store_b32 off, v54, off offset:188
	scratch_store_b32 off, v52, off offset:184
	v_lshrrev_b32_e32 v15, 16, v51
	v_pack_b32_f16 v4, v4, v14
	v_fmac_f16_e32 v6, v53, v5
	v_fma_f16 v5, v180, v12, -v16
	v_mul_f16_e32 v12, v56, v12
	v_lshrrev_b32_e32 v14, 16, v9
	v_mov_b32_e32 v53, v15
	ds_store_b32 v122, v4 offset:8748
	v_pack_b32_f16 v4, v6, v13
	v_fmac_f16_e64 v12, v180, v10
	s_waitcnt vmcnt(35)
	v_lshrrev_b32_e32 v13, 16, v7
	v_mul_f16_e32 v10, v53, v14
	v_mul_f16_e32 v15, v53, v9
	ds_store_b32 v122, v4 offset:17496
	v_mul_f16_e32 v4, v54, v7
	v_pack_b32_f16 v5, v12, v5
	v_lshrrev_b32_e32 v16, 16, v50
	s_waitcnt vmcnt(34)
	v_lshrrev_b32_e32 v12, 16, v49
	v_fmac_f16_e32 v10, v51, v9
	s_waitcnt vmcnt(33)
	v_lshrrev_b32_e32 v9, 16, v8
	v_fma_f16 v4, v52, v13, -v4
	ds_store_2addr_b32 v122, v11, v5 offset1:243
	v_mul_f16_e32 v11, v54, v13
	s_waitcnt vmcnt(30)
	v_lshrrev_b32_e32 v13, 16, v47
	v_fma_f16 v6, v51, v14, -v15
	v_mul_f16_e32 v5, v12, v8
	v_lshrrev_b32_e32 v14, 16, v48
	s_clause 0x3
	scratch_store_b32 off, v47, off offset:140
	scratch_store_b32 off, v48, off offset:144
	;; [unrolled: 1-line block ×4, first 2 shown]
	v_mul_f16_e32 v12, v12, v9
	scratch_store_b32 off, v13, off offset:136 ; 4-byte Folded Spill
	v_fma_f16 v5, v49, v9, -v5
	v_pack_b32_f16 v6, v10, v6
	v_lshrrev_b32_e32 v10, 16, v0
	v_fmac_f16_e32 v12, v49, v8
	v_mul_f16_e32 v9, v16, v0
	v_fmac_f16_e32 v11, v52, v7
	s_clause 0x2
	scratch_store_b32 off, v51, off offset:172
	scratch_store_b32 off, v53, off offset:168
	;; [unrolled: 1-line block ×3, first 2 shown]
	v_pack_b32_f16 v5, v12, v5
	v_fma_f16 v7, v50, v10, -v9
	v_mul_f16_e32 v8, v16, v10
	s_waitcnt vmcnt(29)
	v_lshrrev_b32_e32 v9, 16, v23
	v_mul_f16_e32 v10, v13, v23
	ds_store_2addr_b32 v179, v6, v5 offset0:6 offset1:249
	s_waitcnt vmcnt(27)
	v_lshrrev_b32_e32 v5, 16, v24
	v_fmac_f16_e32 v8, v50, v0
	v_mul_f16_e32 v6, v13, v9
	v_mul_f16_e32 v0, v14, v24
	v_fma_f16 v9, v47, v9, -v10
	v_mul_f16_e32 v10, v14, v5
	v_pack_b32_f16 v4, v11, v4
	v_fmac_f16_e32 v6, v47, v23
	v_fma_f16 v0, v48, v5, -v0
	v_add_nc_u32_e32 v12, 0x4800, v122
	v_fmac_f16_e32 v10, v48, v24
	v_lshrrev_b32_e32 v11, 16, v46
	v_pack_b32_f16 v5, v6, v9
	v_pack_b32_f16 v6, v8, v7
	s_waitcnt vmcnt(26)
	v_lshrrev_b32_e32 v9, 16, v43
	v_pack_b32_f16 v0, v10, v0
	s_waitcnt vmcnt(25)
	v_lshrrev_b32_e32 v7, 16, v25
	ds_store_2addr_b32 v12, v4, v5 offset0:9 offset1:252
	v_mul_f16_e32 v4, v11, v25
	s_waitcnt vmcnt(24)
	v_lshrrev_b32_e32 v10, 16, v45
	ds_store_2addr_b32 v176, v6, v0 offset0:6 offset1:249
	s_waitcnt vmcnt(23)
	v_lshrrev_b32_e32 v0, 16, v26
	v_mul_f16_e32 v5, v11, v7
	v_mul_f16_e32 v6, v9, v26
	v_fma_f16 v4, v46, v7, -v4
	scratch_store_b32 off, v9, off offset:108 ; 4-byte Folded Spill
	v_mul_f16_e32 v8, v9, v0
	v_fmac_f16_e32 v5, v46, v25
	v_fma_f16 v0, v43, v0, -v6
	s_waitcnt vmcnt(21)
	v_lshrrev_b32_e32 v9, 16, v42
	v_lshrrev_b32_e32 v7, 16, v27
	v_fmac_f16_e32 v8, v43, v26
	v_pack_b32_f16 v4, v5, v4
	s_waitcnt vmcnt(20)
	v_lshrrev_b32_e32 v5, 16, v28
	s_clause 0x1
	scratch_store_b32 off, v43, off offset:104
	scratch_store_b32 off, v9, off offset:100
	v_pack_b32_f16 v0, v8, v0
	v_mul_f16_e32 v6, v10, v27
	v_mul_f16_e32 v8, v9, v28
	v_mov_b32_e32 v145, v12
	scratch_store_b32 off, v14, off offset:148 ; 4-byte Folded Spill
	ds_store_2addr_b32 v163, v4, v0 offset0:4 offset1:247
	v_mul_f16_e32 v0, v9, v5
	s_waitcnt vmcnt(19)
	v_lshrrev_b32_e32 v9, 16, v44
	v_fma_f16 v6, v45, v7, -v6
	v_mul_f16_e32 v7, v10, v7
	v_fma_f16 v4, v42, v5, -v8
	s_waitcnt vmcnt(18)
	v_lshrrev_b32_e32 v5, 16, v29
	v_mul_f16_e32 v8, v9, v29
	v_fmac_f16_e32 v0, v42, v28
	v_fmac_f16_e32 v7, v45, v27
	s_clause 0x1
	scratch_store_b32 off, v44, off offset:112
	scratch_store_b32 off, v9, off offset:116
	v_fma_f16 v8, v44, v5, -v8
	v_mul_f16_e32 v5, v9, v5
	s_clause 0x2
	scratch_store_b32 off, v11, off offset:128
	scratch_store_b32 off, v10, off offset:124
	;; [unrolled: 1-line block ×3, first 2 shown]
	v_pack_b32_f16 v6, v7, v6
	v_add_nc_u32_e32 v10, 0x4fa0, v122
	v_fmac_f16_e32 v5, v44, v29
	s_waitcnt vmcnt(17)
	v_lshrrev_b32_e32 v9, 16, v41
	v_pack_b32_f16 v0, v0, v4
	s_waitcnt vmcnt(16)
	v_lshrrev_b32_e32 v4, 16, v30
	s_waitcnt vmcnt(3)
	v_lshrrev_b32_e32 v11, 16, v34
	v_pack_b32_f16 v5, v5, v8
	v_mul_f16_e32 v7, v9, v30
	ds_store_2addr_b32 v10, v6, v0 offset0:7 offset1:250
	v_mul_f16_e32 v0, v9, v4
	v_lshrrev_b32_e32 v8, 16, v40
	v_lshrrev_b32_e32 v6, 16, v31
	v_fma_f16 v4, v41, v4, -v7
	s_clause 0x1
	scratch_store_b32 off, v34, off offset:32
	scratch_store_b32 off, v11, off offset:36
	v_fmac_f16_e32 v0, v41, v30
	v_mul_f16_e32 v7, v8, v31
	s_clause 0x1
	scratch_store_b32 off, v8, off offset:76
	scratch_store_b32 off, v9, off offset:92
	v_mov_b32_e32 v254, v10
	v_pack_b32_f16 v0, v0, v4
	v_fma_f16 v7, v40, v6, -v7
	v_mul_f16_e32 v6, v8, v6
	v_lshrrev_b32_e32 v8, 16, v37
	s_waitcnt vmcnt(2)
	v_lshrrev_b32_e32 v12, 16, v17
	ds_store_2addr_b32 v159, v5, v0 offset0:12 offset1:255
	v_lshrrev_b32_e32 v0, 16, v32
	v_fmac_f16_e32 v6, v40, v31
	v_mul_f16_e32 v4, v8, v32
	s_clause 0x3
	scratch_store_b32 off, v8, off offset:60
	scratch_store_b32 off, v46, off offset:132
	;; [unrolled: 1-line block ×4, first 2 shown]
	v_fma_f16 v4, v37, v0, -v4
	v_mul_f16_e32 v0, v8, v0
	v_pack_b32_f16 v5, v6, v7
	v_lshrrev_b32_e32 v6, 16, v39
	v_lshrrev_b32_e32 v7, 16, v36
	scratch_store_b32 off, v39, off offset:80 ; 4-byte Folded Spill
	v_fmac_f16_e32 v0, v37, v32
	s_clause 0x3
	scratch_store_b32 off, v41, off offset:88
	scratch_store_b32 off, v6, off offset:84
	;; [unrolled: 1-line block ×4, first 2 shown]
	v_pack_b32_f16 v0, v0, v4
	v_lshrrev_b32_e32 v4, 16, v33
	scratch_store_b32 off, v42, off offset:96 ; 4-byte Folded Spill
	v_dual_mov_b32 v255, v254 :: v_dual_and_b32 v78, 0xffff, v113
	ds_store_2addr_b32 v149, v5, v0 offset0:10 offset1:253
	v_mul_f16_e32 v0, v6, v33
	v_mul_f16_e32 v5, v6, v4
	;; [unrolled: 1-line block ×3, first 2 shown]
	s_delay_alu instid0(VALU_DEP_3) | instskip(SKIP_1) | instid1(VALU_DEP_4)
	v_fma_f16 v0, v39, v4, -v0
	v_lshrrev_b32_e32 v4, 16, v21
	v_fmac_f16_e32 v5, v39, v33
	s_delay_alu instid0(VALU_DEP_2) | instskip(SKIP_1) | instid1(VALU_DEP_3)
	v_fma_f16 v6, v36, v4, -v6
	v_mul_f16_e32 v4, v7, v4
	v_pack_b32_f16 v0, v5, v0
	v_add_nc_u32_e32 v7, 0x5740, v122
	v_lshrrev_b32_e32 v5, 16, v38
	scratch_store_b32 off, v38, off offset:64 ; 4-byte Folded Spill
	v_fmac_f16_e32 v4, v36, v21
	scratch_store_b32 off, v40, off offset:72 ; 4-byte Folded Spill
	v_mov_b32_e32 v174, v7
	scratch_store_b32 off, v5, off offset:68 ; 4-byte Folded Spill
	v_and_b32_e32 v100, 0xffff, v112
	v_pack_b32_f16 v4, v4, v6
	ds_store_2addr_b32 v7, v0, v4 offset0:5 offset1:248
	v_lshrrev_b32_e32 v0, 16, v19
	v_mul_f16_e32 v4, v5, v19
	v_lshrrev_b32_e32 v7, 16, v35
	s_clause 0x1
	scratch_store_b32 off, v35, off offset:40
	scratch_store_b32 off, v36, off offset:48
	v_fma_f16 v4, v38, v0, -v4
	scratch_store_b32 off, v7, off offset:44 ; 4-byte Folded Spill
	v_mul_f16_e32 v0, v5, v0
	v_lshrrev_b32_e32 v5, 16, v20
	v_mul_f16_e32 v6, v7, v20
	s_delay_alu instid0(VALU_DEP_3) | instskip(NEXT) | instid1(VALU_DEP_2)
	v_fmac_f16_e32 v0, v38, v19
	v_fma_f16 v6, v35, v5, -v6
	v_mul_f16_e32 v5, v7, v5
	s_delay_alu instid0(VALU_DEP_3) | instskip(NEXT) | instid1(VALU_DEP_2)
	v_pack_b32_f16 v0, v0, v4
	v_fmac_f16_e32 v5, v35, v20
	s_delay_alu instid0(VALU_DEP_1)
	v_pack_b32_f16 v4, v5, v6
	ds_store_2addr_b32 v144, v0, v4 offset0:2 offset1:245
	v_add_co_u32 v4, vcc_lo, v2, s3
	v_add_co_ci_u32_e32 v5, vcc_lo, s2, v3, vcc_lo
	global_load_b32 v0, v[2:3], off
	v_add_co_u32 v6, vcc_lo, v4, s8
	v_add_co_ci_u32_e32 v7, vcc_lo, s9, v5, vcc_lo
	s_delay_alu instid0(VALU_DEP_2) | instskip(NEXT) | instid1(VALU_DEP_2)
	v_add_co_u32 v2, vcc_lo, v6, s3
	v_add_co_ci_u32_e32 v3, vcc_lo, s2, v7, vcc_lo
	s_delay_alu instid0(VALU_DEP_2)
	v_add_co_u32 v8, vcc_lo, v2, s3
	global_load_b32 v2, v[2:3], off
	v_add_co_ci_u32_e32 v9, vcc_lo, s2, v3, vcc_lo
	v_add_co_u32 v137, vcc_lo, 0x6000, v193
	v_add_co_ci_u32_e32 v138, vcc_lo, 0, v194, vcc_lo
	s_waitcnt vmcnt(1)
	v_lshrrev_b32_e32 v3, 16, v0
	v_mul_f16_e32 v10, v11, v0
	s_delay_alu instid0(VALU_DEP_1) | instskip(SKIP_1) | instid1(VALU_DEP_1)
	v_fma_f16 v10, v34, v3, -v10
	v_mul_f16_e32 v3, v11, v3
	v_fmac_f16_e32 v3, v34, v0
	s_waitcnt vmcnt(0)
	v_lshrrev_b32_e32 v0, 16, v2
	v_mul_f16_e32 v11, v12, v2
	s_delay_alu instid0(VALU_DEP_1) | instskip(SKIP_1) | instid1(VALU_DEP_1)
	v_fma_f16 v11, v17, v0, -v11
	v_mul_f16_e32 v0, v12, v0
	v_fmac_f16_e32 v0, v17, v2
	v_pack_b32_f16 v2, v3, v10
	s_delay_alu instid0(VALU_DEP_2)
	v_pack_b32_f16 v0, v0, v11
	ds_store_2addr_b32 v171, v2, v0 offset1:243
	global_load_b32 v0, v[4:5], off
	global_load_b32 v2, v[8:9], off
	global_load_b32 v8, v[137:138], off offset:696
	v_lshrrev_b32_e32 v5, 16, v22
	s_load_b128 s[8:11], s[10:11], 0x0
	scratch_store_b32 off, v5, off offset:28 ; 4-byte Folded Spill
	s_waitcnt lgkmcnt(0)
	s_mul_i32 s12, s8, 0x222c
	s_waitcnt vmcnt(2)
	v_lshrrev_b32_e32 v3, 16, v0
	v_mul_f16_e32 v4, v5, v0
	s_waitcnt vmcnt(0)
	v_lshrrev_b32_e32 v9, 16, v8
	scratch_store_b32 off, v8, off          ; 4-byte Folded Spill
	v_fma_f16 v4, v22, v3, -v4
	scratch_store_b32 off, v9, off offset:4 ; 4-byte Folded Spill
	v_mul_f16_e32 v3, v5, v3
	v_mul_f16_e32 v5, v9, v2
	s_delay_alu instid0(VALU_DEP_2) | instskip(SKIP_1) | instid1(VALU_DEP_1)
	v_fmac_f16_e32 v3, v22, v0
	v_lshrrev_b32_e32 v0, 16, v2
	v_fma_f16 v5, v8, v0, -v5
	v_mul_f16_e32 v0, v9, v0
	s_delay_alu instid0(VALU_DEP_1)
	v_fmac_f16_e32 v0, v8, v2
	v_pack_b32_f16 v2, v3, v4
	v_add_nc_u32_e32 v3, 0x5ec0, v122
	v_lshrrev_b32_e32 v4, 16, v18
	scratch_store_b32 off, v18, off offset:16 ; 4-byte Folded Spill
	v_pack_b32_f16 v0, v0, v5
	s_clause 0x1
	scratch_store_b32 off, v22, off offset:24
	scratch_store_b32 off, v4, off offset:20
	ds_store_2addr_b32 v3, v2, v0 offset0:11 offset1:254
	global_load_b32 v0, v[6:7], off
	s_waitcnt vmcnt(0)
	v_lshrrev_b32_e32 v2, 16, v0
	v_mul_f16_e32 v3, v4, v0
	s_delay_alu instid0(VALU_DEP_1) | instskip(SKIP_1) | instid1(VALU_DEP_1)
	v_fma_f16 v3, v18, v2, -v3
	v_mul_f16_e32 v2, v4, v2
	v_fmac_f16_e32 v2, v18, v0
	s_delay_alu instid0(VALU_DEP_1)
	v_pack_b32_f16 v0, v2, v3
	ds_store_b32 v122, v0 offset:7776
	s_waitcnt lgkmcnt(0)
	s_waitcnt_vscnt null, 0x0
	s_barrier
	buffer_gl0_inv
	ds_load_2addr_b32 v[6:7], v187 offset0:6 offset1:249
	ds_load_2addr_b32 v[4:5], v179 offset0:6 offset1:249
	ds_load_2addr_b32 v[8:9], v122 offset1:243
	ds_load_b32 v14, v122 offset:25272
	ds_load_2addr_b32 v[10:11], v171 offset1:243
	ds_load_2addr_b32 v[15:16], v188 offset0:8 offset1:251
	s_waitcnt lgkmcnt(5)
	v_lshrrev_b32_e32 v25, 16, v7
	s_waitcnt lgkmcnt(4)
	v_add_f16_e32 v0, v4, v7
	s_waitcnt lgkmcnt(3)
	v_lshrrev_b32_e32 v13, 16, v9
	v_add_f16_e32 v12, v9, v4
	s_waitcnt lgkmcnt(0)
	v_lshrrev_b32_e32 v2, 16, v15
	v_add_f16_e32 v3, v15, v11
	v_fmac_f16_e32 v9, -0.5, v0
	v_add_f16_e32 v0, v11, v14
	v_lshrrev_b32_e32 v27, 16, v14
	v_lshrrev_b32_e32 v32, 16, v8
	v_sub_f16_e32 v33, v16, v6
	v_add_f16_e32 v34, v12, v7
	v_fmac_f16_e32 v15, -0.5, v0
	v_lshrrev_b32_e32 v0, 16, v4
	v_sub_f16_e32 v4, v4, v7
	s_delay_alu instid0(VALU_DEP_2) | instskip(NEXT) | instid1(VALU_DEP_1)
	v_sub_f16_e32 v17, v0, v25
	v_fmamk_f16 v26, v17, 0x3aee, v9
	v_fmac_f16_e32 v9, 0xbaee, v17
	v_add_f16_e32 v17, v0, v25
	v_add_f16_e32 v0, v13, v0
	s_delay_alu instid0(VALU_DEP_2) | instskip(SKIP_1) | instid1(VALU_DEP_3)
	v_fmac_f16_e32 v13, -0.5, v17
	v_lshrrev_b32_e32 v17, 16, v11
	v_add_f16_e32 v0, v0, v25
	s_delay_alu instid0(VALU_DEP_3) | instskip(NEXT) | instid1(VALU_DEP_3)
	v_fmamk_f16 v30, v4, 0xbaee, v13
	v_add_f16_e32 v18, v17, v27
	v_add_f16_e32 v28, v2, v17
	v_fmac_f16_e32 v13, 0x3aee, v4
	v_sub_f16_e32 v4, v11, v14
	v_sub_f16_e32 v17, v17, v27
	v_fmac_f16_e32 v2, -0.5, v18
	v_pack_b32_f16 v25, v26, v30
	v_pack_b32_f16 v13, v9, v13
	v_add_f16_e32 v9, v8, v16
	v_fmamk_f16 v29, v17, 0x3aee, v15
	v_fmamk_f16 v31, v4, 0xbaee, v2
	v_fmac_f16_e32 v2, 0x3aee, v4
	v_add_f16_e32 v4, v16, v6
	v_add_f16_e32 v9, v9, v6
	v_lshrrev_b32_e32 v6, 16, v6
	v_fmac_f16_e32 v15, 0xbaee, v17
	v_pack_b32_f16 v0, v34, v0
	v_fma_f16 v4, -0.5, v4, v8
	v_lshrrev_b32_e32 v8, 16, v16
	s_delay_alu instid0(VALU_DEP_4) | instskip(NEXT) | instid1(VALU_DEP_2)
	v_pack_b32_f16 v2, v15, v2
	v_add_f16_e32 v7, v32, v8
	v_add_f16_e32 v11, v8, v6
	v_sub_f16_e32 v35, v8, v6
	s_delay_alu instid0(VALU_DEP_3) | instskip(NEXT) | instid1(VALU_DEP_3)
	v_add_f16_e32 v7, v7, v6
	v_fmac_f16_e32 v32, -0.5, v11
	s_delay_alu instid0(VALU_DEP_3) | instskip(SKIP_1) | instid1(VALU_DEP_4)
	v_fmamk_f16 v6, v35, 0x3aee, v4
	v_fmac_f16_e32 v4, 0xbaee, v35
	v_pack_b32_f16 v36, v9, v7
	s_delay_alu instid0(VALU_DEP_4) | instskip(SKIP_1) | instid1(VALU_DEP_2)
	v_fmamk_f16 v7, v33, 0xbaee, v32
	v_fmac_f16_e32 v32, 0x3aee, v33
	v_pack_b32_f16 v37, v6, v7
	v_mul_lo_u16 v6, v1, 3
	s_delay_alu instid0(VALU_DEP_3) | instskip(NEXT) | instid1(VALU_DEP_2)
	v_pack_b32_f16 v4, v4, v32
	v_and_b32_e32 v6, 0xffff, v6
	s_delay_alu instid0(VALU_DEP_1)
	v_lshlrev_b32_e32 v38, 2, v6
	scratch_store_b32 off, v38, off offset:208 ; 4-byte Folded Spill
	ds_load_2addr_b32 v[6:7], v176 offset0:6 offset1:249
	ds_load_2addr_b32 v[8:9], v181 offset0:12 offset1:255
	;; [unrolled: 1-line block ×8, first 2 shown]
	s_waitcnt lgkmcnt(0)
	s_waitcnt_vscnt null, 0x0
	s_barrier
	buffer_gl0_inv
	ds_store_2addr_b32 v38, v36, v37 offset1:1
	ds_store_b32 v38, v4 offset:8
	v_mul_u32_u24_e32 v4, 3, v85
	s_delay_alu instid0(VALU_DEP_1)
	v_lshlrev_b32_e32 v4, 2, v4
	v_lshrrev_b32_e32 v30, 16, v7
	v_lshrrev_b32_e32 v33, 16, v9
	v_add_f16_e32 v26, v11, v9
	v_add_f16_e32 v32, v7, v11
	v_mov_b32_e32 v36, v4
	ds_store_2addr_b32 v4, v0, v25 offset1:1
	v_add_f16_e32 v4, v6, v5
	v_fmac_f16_e32 v7, -0.5, v26
	v_lshrrev_b32_e32 v26, 16, v11
	ds_store_b32 v36, v13 offset:8
	v_add_f16_e32 v0, v5, v8
	v_lshrrev_b32_e32 v25, 16, v5
	v_sub_f16_e32 v5, v5, v8
	v_sub_f16_e32 v34, v26, v33
	;; [unrolled: 1-line block ×3, first 2 shown]
	v_add_f16_e32 v4, v4, v8
	v_lshrrev_b32_e32 v8, 16, v8
	v_fma_f16 v0, -0.5, v0, v6
	v_fmamk_f16 v35, v34, 0x3aee, v7
	v_fmac_f16_e32 v7, 0xbaee, v34
	v_add_f16_e32 v34, v26, v33
	v_add_f16_e32 v26, v30, v26
	v_lshrrev_b32_e32 v6, 16, v6
	v_add_f16_e32 v9, v32, v9
	s_delay_alu instid0(VALU_DEP_4) | instskip(NEXT) | instid1(VALU_DEP_1)
	v_fmac_f16_e32 v30, -0.5, v34
	v_fmamk_f16 v34, v11, 0xbaee, v30
	v_fmac_f16_e32 v30, 0x3aee, v11
	v_add_f16_e32 v11, v25, v8
	s_delay_alu instid0(VALU_DEP_2) | instskip(SKIP_1) | instid1(VALU_DEP_3)
	v_pack_b32_f16 v7, v7, v30
	v_add_f16_e32 v30, v6, v25
	v_fmac_f16_e32 v6, -0.5, v11
	v_sub_f16_e32 v11, v25, v8
	s_delay_alu instid0(VALU_DEP_3) | instskip(NEXT) | instid1(VALU_DEP_2)
	v_add_f16_e32 v8, v30, v8
	v_fmamk_f16 v25, v11, 0x3aee, v0
	v_fmac_f16_e32 v0, 0xbaee, v11
	v_fmamk_f16 v11, v5, 0xbaee, v6
	v_fmac_f16_e32 v6, 0x3aee, v5
	v_pack_b32_f16 v4, v4, v8
	v_add_f16_e32 v8, v19, v18
	s_delay_alu instid0(VALU_DEP_4) | instskip(NEXT) | instid1(VALU_DEP_4)
	v_pack_b32_f16 v5, v25, v11
	v_pack_b32_f16 v0, v0, v6
	v_mul_u32_u24_e32 v6, 3, v84
	v_lshrrev_b32_e32 v11, 16, v16
	s_delay_alu instid0(VALU_DEP_2)
	v_lshlrev_b32_e32 v6, 2, v6
	ds_store_2addr_b32 v6, v4, v5 offset1:1
	ds_store_b32 v6, v0 offset:8
	v_add_f16_e32 v4, v26, v33
	v_mul_u32_u24_e32 v0, 3, v98
	v_pack_b32_f16 v5, v35, v34
	scratch_store_b32 off, v6, off offset:212 ; 4-byte Folded Spill
	v_sub_f16_e32 v6, v12, v17
	v_pack_b32_f16 v4, v9, v4
	v_lshlrev_b32_e32 v0, 2, v0
	v_add_f16_e32 v9, v16, v19
	v_fmac_f16_e32 v16, -0.5, v8
	v_lshrrev_b32_e32 v8, 16, v18
	s_delay_alu instid0(VALU_DEP_4)
	v_mov_b32_e32 v26, v0
	ds_store_2addr_b32 v0, v4, v5 offset1:1
	v_lshrrev_b32_e32 v0, 16, v12
	v_add_f16_e32 v4, v15, v12
	v_add_f16_e32 v5, v12, v17
	ds_store_b32 v26, v7 offset:8
	v_lshrrev_b32_e32 v12, 16, v19
	v_add_f16_e32 v9, v9, v18
	v_add_f16_e32 v4, v4, v17
	v_fma_f16 v5, -0.5, v5, v15
	v_lshrrev_b32_e32 v15, 16, v15
	v_add_f16_e32 v13, v12, v8
	v_add_f16_e32 v25, v11, v12
	v_sub_f16_e32 v12, v12, v8
	v_add_f16_e32 v7, v10, v24
	s_delay_alu instid0(VALU_DEP_4) | instskip(NEXT) | instid1(VALU_DEP_3)
	v_fmac_f16_e32 v11, -0.5, v13
	v_fmamk_f16 v13, v12, 0x3aee, v16
	v_fmac_f16_e32 v16, 0xbaee, v12
	v_sub_f16_e32 v12, v19, v18
	s_delay_alu instid0(VALU_DEP_1) | instskip(SKIP_3) | instid1(VALU_DEP_3)
	v_fmamk_f16 v19, v12, 0xbaee, v11
	v_fmac_f16_e32 v11, 0x3aee, v12
	v_lshrrev_b32_e32 v12, 16, v17
	v_add_f16_e32 v17, v15, v0
	v_pack_b32_f16 v11, v16, v11
	s_delay_alu instid0(VALU_DEP_3) | instskip(SKIP_1) | instid1(VALU_DEP_4)
	v_add_f16_e32 v16, v0, v12
	v_sub_f16_e32 v0, v0, v12
	v_add_f16_e32 v12, v17, v12
	s_delay_alu instid0(VALU_DEP_3) | instskip(NEXT) | instid1(VALU_DEP_3)
	v_fmac_f16_e32 v15, -0.5, v16
	v_fmamk_f16 v16, v0, 0x3aee, v5
	v_fmac_f16_e32 v5, 0xbaee, v0
	s_delay_alu instid0(VALU_DEP_4) | instskip(SKIP_4) | instid1(VALU_DEP_3)
	v_pack_b32_f16 v4, v4, v12
	v_lshrrev_b32_e32 v12, 16, v24
	v_fmamk_f16 v0, v6, 0xbaee, v15
	v_fmac_f16_e32 v15, 0x3aee, v6
	v_mul_u32_u24_e32 v6, 3, v115
	v_pack_b32_f16 v0, v16, v0
	s_delay_alu instid0(VALU_DEP_3) | instskip(NEXT) | instid1(VALU_DEP_3)
	v_pack_b32_f16 v5, v5, v15
	v_lshlrev_b32_e32 v6, 2, v6
	v_lshrrev_b32_e32 v16, 16, v21
	scratch_store_b32 off, v36, off offset:220 ; 4-byte Folded Spill
	ds_store_2addr_b32 v6, v4, v0 offset1:1
	ds_store_b32 v6, v5 offset:8
	v_add_f16_e32 v0, v25, v8
	v_lshrrev_b32_e32 v8, 16, v22
	v_pack_b32_f16 v4, v13, v19
	v_mul_u32_u24_e32 v5, 3, v113
	scratch_store_b32 off, v6, off offset:216 ; 4-byte Folded Spill
	v_pack_b32_f16 v0, v9, v0
	v_add_f16_e32 v9, v22, v10
	v_fmac_f16_e32 v22, -0.5, v7
	v_lshrrev_b32_e32 v7, 16, v10
	v_lshlrev_b32_e32 v5, 2, v5
	v_sub_f16_e32 v10, v10, v24
	v_sub_f16_e32 v6, v20, v23
	v_add_f16_e32 v9, v9, v24
	v_add_f16_e32 v13, v7, v12
	;; [unrolled: 1-line block ×3, first 2 shown]
	v_sub_f16_e32 v7, v7, v12
	v_mov_b32_e32 v19, v5
	ds_store_2addr_b32 v5, v0, v4 offset1:1
	v_fmac_f16_e32 v8, -0.5, v13
	v_lshrrev_b32_e32 v0, 16, v20
	v_fmamk_f16 v13, v7, 0x3aee, v22
	ds_store_b32 v19, v11 offset:8
	v_fmac_f16_e32 v22, 0xbaee, v7
	v_fmamk_f16 v7, v10, 0xbaee, v8
	v_fmac_f16_e32 v8, 0x3aee, v10
	v_lshrrev_b32_e32 v10, 16, v23
	v_add_f16_e32 v4, v20, v23
	v_add_f16_e32 v5, v21, v20
	;; [unrolled: 1-line block ×3, first 2 shown]
	v_pack_b32_f16 v8, v22, v8
	v_add_f16_e32 v17, v0, v10
	v_fma_f16 v4, -0.5, v4, v21
	v_sub_f16_e32 v0, v0, v10
	v_add_f16_e32 v5, v5, v23
	v_add_f16_e32 v10, v18, v10
	v_fmac_f16_e32 v16, -0.5, v17
	scratch_store_b32 off, v19, off offset:240 ; 4-byte Folded Spill
	v_fmamk_f16 v17, v0, 0x3aee, v4
	v_fmac_f16_e32 v4, 0xbaee, v0
	v_pack_b32_f16 v5, v5, v10
	v_fmamk_f16 v0, v6, 0xbaee, v16
	v_fmac_f16_e32 v16, 0x3aee, v6
	v_mul_u32_u24_e32 v6, 3, v114
	s_delay_alu instid0(VALU_DEP_3) | instskip(NEXT) | instid1(VALU_DEP_3)
	v_pack_b32_f16 v0, v17, v0
	v_pack_b32_f16 v4, v4, v16
	s_delay_alu instid0(VALU_DEP_3)
	v_lshlrev_b32_e32 v6, 2, v6
	scratch_store_b32 off, v26, off offset:236 ; 4-byte Folded Spill
	ds_store_2addr_b32 v6, v5, v0 offset1:1
	ds_store_b32 v6, v4 offset:8
	v_add_f16_e32 v0, v15, v12
	v_mul_u32_u24_e32 v5, 3, v112
	v_pack_b32_f16 v4, v13, v7
	scratch_store_b32 off, v6, off offset:232 ; 4-byte Folded Spill
	v_pack_b32_f16 v0, v9, v0
	v_lshlrev_b32_e32 v5, 2, v5
	ds_store_2addr_b32 v5, v0, v4 offset1:1
	ds_store_b32 v5, v8 offset:8
	v_add_f16_e32 v0, v3, v14
	v_add_f16_e32 v3, v28, v27
	v_pack_b32_f16 v4, v29, v31
	s_delay_alu instid0(VALU_DEP_2) | instskip(SKIP_1) | instid1(VALU_DEP_1)
	v_pack_b32_f16 v0, v0, v3
	v_mul_u32_u24_e32 v3, 3, v141
	v_lshlrev_b32_e32 v3, 2, v3
	s_clause 0x1
	scratch_store_b32 off, v5, off offset:228
	scratch_store_b32 off, v3, off offset:224
	ds_store_2addr_b32 v3, v0, v4 offset1:1
	ds_store_b32 v3, v2 offset:8
	v_mul_u32_u24_e32 v0, 0xaaab, v58
	s_waitcnt lgkmcnt(0)
	s_waitcnt_vscnt null, 0x0
	s_barrier
	buffer_gl0_inv
	v_lshrrev_b32_e32 v30, 17, v0
	v_mul_lo_u16 v0, 0xab, v59
	s_delay_alu instid0(VALU_DEP_1) | instskip(NEXT) | instid1(VALU_DEP_3)
	v_lshrrev_b16 v12, 9, v0
	v_mul_lo_u16 v0, v30, 3
	s_delay_alu instid0(VALU_DEP_1) | instskip(NEXT) | instid1(VALU_DEP_3)
	v_sub_nc_u16 v31, v85, v0
	v_mul_lo_u16 v0, v12, 3
	v_and_b32_e32 v12, 0xffff, v12
	s_delay_alu instid0(VALU_DEP_3) | instskip(NEXT) | instid1(VALU_DEP_3)
	v_lshlrev_b16 v2, 1, v31
	v_sub_nc_u16 v0, v1, v0
	s_delay_alu instid0(VALU_DEP_3) | instskip(NEXT) | instid1(VALU_DEP_3)
	v_mul_u32_u24_e32 v12, 9, v12
	v_and_b32_e32 v4, 0xffff, v2
	s_delay_alu instid0(VALU_DEP_3) | instskip(SKIP_2) | instid1(VALU_DEP_4)
	v_and_b32_e32 v13, 0xff, v0
	v_mul_u32_u24_e32 v0, 0xaaab, v77
	v_mul_u32_u24_e32 v2, 0xaaab, v76
	v_lshlrev_b32_e32 v4, 2, v4
	s_delay_alu instid0(VALU_DEP_4) | instskip(NEXT) | instid1(VALU_DEP_4)
	v_lshlrev_b32_e32 v8, 3, v13
	v_lshrrev_b32_e32 v0, 17, v0
	s_delay_alu instid0(VALU_DEP_4) | instskip(SKIP_2) | instid1(VALU_DEP_4)
	v_lshrrev_b32_e32 v2, 17, v2
	v_add_lshl_u32 v55, v12, v13, 2
	v_mul_u32_u24_e32 v13, 0xaaab, v78
	v_mul_lo_u16 v3, v0, 3
	s_delay_alu instid0(VALU_DEP_4) | instskip(NEXT) | instid1(VALU_DEP_3)
	v_mul_lo_u16 v5, v2, 3
	v_lshrrev_b32_e32 v13, 17, v13
	s_delay_alu instid0(VALU_DEP_3) | instskip(NEXT) | instid1(VALU_DEP_3)
	v_sub_nc_u16 v3, v84, v3
	v_sub_nc_u16 v5, v98, v5
	s_delay_alu instid0(VALU_DEP_2) | instskip(NEXT) | instid1(VALU_DEP_2)
	v_lshlrev_b16 v6, 1, v3
	v_lshlrev_b16 v7, 1, v5
	v_mad_u16 v0, v0, 9, v3
	v_mad_u16 v2, v2, 9, v5
	s_delay_alu instid0(VALU_DEP_4) | instskip(NEXT) | instid1(VALU_DEP_4)
	v_and_b32_e32 v6, 0xffff, v6
	v_and_b32_e32 v7, 0xffff, v7
	s_delay_alu instid0(VALU_DEP_4) | instskip(NEXT) | instid1(VALU_DEP_4)
	v_and_b32_e32 v0, 0xffff, v0
	v_and_b32_e32 v2, 0xffff, v2
	s_delay_alu instid0(VALU_DEP_4) | instskip(NEXT) | instid1(VALU_DEP_4)
	v_lshlrev_b32_e32 v6, 2, v6
	v_lshlrev_b32_e32 v7, 2, v7
	s_clause 0x3
	global_load_b64 v[139:140], v8, s[6:7]
	global_load_b64 v[135:136], v4, s[6:7]
	;; [unrolled: 1-line block ×4, first 2 shown]
	ds_load_2addr_b32 v[14:15], v187 offset0:6 offset1:249
	ds_load_2addr_b32 v[35:36], v179 offset0:6 offset1:249
	ds_load_2addr_b32 v[16:17], v122 offset1:243
	v_lshlrev_b32_e32 v0, 2, v0
	v_lshlrev_b32_e32 v2, 2, v2
	s_waitcnt lgkmcnt(2)
	v_lshrrev_b32_e32 v4, 16, v14
	v_lshrrev_b32_e32 v7, 16, v15
	s_waitcnt lgkmcnt(0)
	v_lshrrev_b32_e32 v18, 16, v17
	s_waitcnt vmcnt(3)
	v_lshrrev_b32_e32 v9, 16, v140
	s_waitcnt vmcnt(2)
	v_lshrrev_b32_e32 v10, 16, v136
	v_lshrrev_b32_e32 v11, 16, v135
	;; [unrolled: 1-line block ×3, first 2 shown]
	v_mul_f16_e32 v6, v4, v9
	s_delay_alu instid0(VALU_DEP_4) | instskip(SKIP_2) | instid1(VALU_DEP_4)
	v_mul_f16_e32 v8, v7, v10
	v_mul_f16_e32 v9, v14, v9
	;; [unrolled: 1-line block ×3, first 2 shown]
	v_fma_f16 v6, v14, v140, -v6
	s_delay_alu instid0(VALU_DEP_4) | instskip(NEXT) | instid1(VALU_DEP_4)
	v_fma_f16 v8, v15, v136, -v8
	v_fmac_f16_e64 v9, v4, v140
	s_delay_alu instid0(VALU_DEP_4)
	v_fmac_f16_e64 v10, v7, v136
	v_lshrrev_b32_e32 v4, 16, v35
	v_mul_f16_e32 v7, v35, v11
	ds_load_2addr_b32 v[14:15], v188 offset0:8 offset1:251
	v_fmac_f16_e64 v7, v4, v135
	v_mul_f16_e32 v4, v4, v11
	s_delay_alu instid0(VALU_DEP_2) | instskip(NEXT) | instid1(VALU_DEP_2)
	v_add_f16_e32 v49, v18, v7
	v_fma_f16 v4, v35, v135, -v4
	s_delay_alu instid0(VALU_DEP_1) | instskip(SKIP_2) | instid1(VALU_DEP_3)
	v_add_f16_e32 v11, v4, v8
	v_add_f16_e32 v19, v17, v4
	v_sub_f16_e32 v4, v4, v8
	v_fmac_f16_e32 v17, -0.5, v11
	v_add_f16_e32 v11, v7, v10
	v_sub_f16_e32 v7, v7, v10
	s_waitcnt lgkmcnt(0)
	v_mul_f16_e32 v20, v15, v21
	s_delay_alu instid0(VALU_DEP_3) | instskip(NEXT) | instid1(VALU_DEP_3)
	v_fmac_f16_e32 v18, -0.5, v11
	v_fmamk_f16 v11, v7, 0x3aee, v17
	v_fmac_f16_e32 v17, 0xbaee, v7
	s_delay_alu instid0(VALU_DEP_3) | instskip(SKIP_2) | instid1(VALU_DEP_2)
	v_fmamk_f16 v7, v4, 0xbaee, v18
	v_fmac_f16_e32 v18, 0x3aee, v4
	v_lshrrev_b32_e32 v4, 16, v15
	v_pack_b32_f16 v17, v17, v18
	s_delay_alu instid0(VALU_DEP_2) | instskip(SKIP_1) | instid1(VALU_DEP_2)
	v_fmac_f16_e64 v20, v4, v139
	v_mul_f16_e32 v4, v4, v21
	v_sub_f16_e32 v51, v20, v9
	s_delay_alu instid0(VALU_DEP_2) | instskip(NEXT) | instid1(VALU_DEP_1)
	v_fma_f16 v4, v15, v139, -v4
	v_add_f16_e32 v15, v4, v6
	s_delay_alu instid0(VALU_DEP_1) | instskip(SKIP_3) | instid1(VALU_DEP_3)
	v_fma_f16 v50, -0.5, v15, v16
	v_add_f16_e32 v15, v16, v4
	v_lshrrev_b32_e32 v16, 16, v16
	v_sub_f16_e32 v4, v4, v6
	v_add_f16_e32 v6, v15, v6
	v_add_f16_e32 v15, v20, v9
	s_delay_alu instid0(VALU_DEP_4) | instskip(NEXT) | instid1(VALU_DEP_2)
	v_add_f16_e32 v18, v16, v20
	v_fmac_f16_e32 v16, -0.5, v15
	s_delay_alu instid0(VALU_DEP_2) | instskip(SKIP_1) | instid1(VALU_DEP_3)
	v_add_f16_e32 v9, v18, v9
	v_mul_u32_u24_e32 v15, 0xaaab, v101
	v_fmamk_f16 v12, v4, 0xbaee, v16
	s_delay_alu instid0(VALU_DEP_3) | instskip(SKIP_1) | instid1(VALU_DEP_4)
	v_pack_b32_f16 v6, v6, v9
	v_fmamk_f16 v9, v51, 0x3aee, v50
	v_lshrrev_b32_e32 v18, 17, v15
	v_mul_u32_u24_e32 v15, 0xaaab, v100
	v_fmac_f16_e32 v50, 0xbaee, v51
	v_fmac_f16_e32 v16, 0x3aee, v4
	v_pack_b32_f16 v9, v9, v12
	v_mul_u32_u24_e32 v12, 0xaaab, v79
	v_lshrrev_b32_e32 v33, 17, v15
	v_mul_u32_u24_e32 v15, 0xaaab, v99
	v_add_f16_e32 v4, v19, v8
	v_pack_b32_f16 v8, v50, v16
	v_lshrrev_b32_e32 v12, 17, v12
	s_waitcnt vmcnt(0)
	v_lshrrev_b32_e32 v16, 16, v132
	v_lshrrev_b32_e32 v15, 17, v15
	s_delay_alu instid0(VALU_DEP_3) | instskip(NEXT) | instid1(VALU_DEP_1)
	v_mul_lo_u16 v20, v12, 3
	v_sub_nc_u16 v52, v115, v20
	v_mul_lo_u16 v20, v13, 3
	s_delay_alu instid0(VALU_DEP_1) | instskip(SKIP_1) | instid1(VALU_DEP_2)
	v_sub_nc_u16 v53, v113, v20
	v_mul_lo_u16 v20, v18, 3
	v_lshlrev_b16 v21, 1, v53
	s_delay_alu instid0(VALU_DEP_2) | instskip(SKIP_1) | instid1(VALU_DEP_3)
	v_sub_nc_u16 v54, v114, v20
	v_mul_lo_u16 v20, v33, 3
	v_and_b32_e32 v21, 0xffff, v21
	s_delay_alu instid0(VALU_DEP_3) | instskip(NEXT) | instid1(VALU_DEP_3)
	v_lshlrev_b16 v22, 1, v54
	v_sub_nc_u16 v35, v112, v20
	v_mul_lo_u16 v20, v15, 3
	s_delay_alu instid0(VALU_DEP_4) | instskip(NEXT) | instid1(VALU_DEP_4)
	v_lshlrev_b32_e32 v21, 2, v21
	v_and_b32_e32 v22, 0xffff, v22
	s_delay_alu instid0(VALU_DEP_4) | instskip(NEXT) | instid1(VALU_DEP_4)
	v_lshlrev_b16 v23, 1, v35
	v_sub_nc_u16 v32, v141, v20
	v_lshlrev_b16 v20, 1, v52
	s_delay_alu instid0(VALU_DEP_4) | instskip(NEXT) | instid1(VALU_DEP_4)
	v_lshlrev_b32_e32 v22, 2, v22
	v_and_b32_e32 v23, 0xffff, v23
	s_delay_alu instid0(VALU_DEP_4) | instskip(NEXT) | instid1(VALU_DEP_4)
	v_lshlrev_b16 v24, 1, v32
	v_and_b32_e32 v20, 0xffff, v20
	s_delay_alu instid0(VALU_DEP_3) | instskip(NEXT) | instid1(VALU_DEP_3)
	v_lshlrev_b32_e32 v23, 2, v23
	v_and_b32_e32 v24, 0xffff, v24
	s_delay_alu instid0(VALU_DEP_3) | instskip(NEXT) | instid1(VALU_DEP_2)
	v_lshlrev_b32_e32 v20, 2, v20
	v_lshlrev_b32_e32 v24, 2, v24
	s_clause 0x4
	global_load_b64 v[129:130], v20, s[6:7]
	global_load_b64 v[127:128], v21, s[6:7]
	global_load_b64 v[125:126], v22, s[6:7]
	global_load_b64 v[182:183], v23, s[6:7]
	global_load_b64 v[123:124], v24, s[6:7]
	ds_load_b32 v34, v122 offset:25272
	ds_load_2addr_b32 v[37:38], v181 offset0:12 offset1:255
	ds_load_2addr_b32 v[39:40], v163 offset0:4 offset1:247
	;; [unrolled: 1-line block ×8, first 2 shown]
	ds_load_2addr_b32 v[24:25], v171 offset1:243
	s_waitcnt vmcnt(0) lgkmcnt(0)
	s_barrier
	buffer_gl0_inv
	ds_store_2addr_b32 v55, v6, v9 offset1:3
	v_add_f16_e32 v6, v49, v10
	v_mad_u16 v9, v30, 9, v31
	ds_store_b32 v55, v8 offset:24
	v_lshrrev_b32_e32 v21, 16, v134
	v_pack_b32_f16 v4, v4, v6
	v_pack_b32_f16 v6, v11, v7
	v_lshrrev_b32_e32 v8, 16, v37
	v_lshrrev_b32_e32 v10, 16, v38
	v_and_b32_e32 v7, 0xffff, v9
	v_mul_f16_e32 v19, v37, v21
	v_lshrrev_b32_e32 v5, 16, v43
	v_mul_f16_e32 v9, v8, v21
	v_mul_f16_e32 v11, v10, v16
	;; [unrolled: 1-line block ×3, first 2 shown]
	v_lshrrev_b32_e32 v21, 16, v131
	v_lshlrev_b32_e32 v7, 2, v7
	v_fma_f16 v9, v37, v134, -v9
	v_fma_f16 v11, v38, v132, -v11
	v_fmac_f16_e64 v16, v10, v132
	v_lshrrev_b32_e32 v10, 16, v39
	v_mul_f16_e32 v30, v39, v21
	ds_store_2addr_b32 v7, v4, v6 offset1:3
	v_mov_b32_e32 v20, v7
	v_lshrrev_b32_e32 v4, 16, v36
	v_lshrrev_b32_e32 v7, 16, v133
	v_fmac_f16_e64 v30, v10, v131
	v_mul_f16_e32 v10, v10, v21
	v_fmac_f16_e64 v19, v8, v134
	ds_store_b32 v20, v17 offset:24
	v_mul_f16_e32 v6, v4, v7
	v_mul_f16_e32 v7, v36, v7
	v_fma_f16 v10, v39, v131, -v10
	v_lshrrev_b32_e32 v39, 16, v41
	scratch_store_b32 off, v55, off offset:244 ; 4-byte Folded Spill
	v_fma_f16 v6, v36, v133, -v6
	v_lshrrev_b32_e32 v36, 16, v42
	v_add_f16_e32 v31, v10, v11
	v_add_f16_e32 v37, v42, v10
	v_sub_f16_e32 v10, v10, v11
	v_fmac_f16_e64 v7, v4, v133
	v_add_f16_e32 v38, v36, v30
	v_fmac_f16_e32 v42, -0.5, v31
	v_add_f16_e32 v31, v30, v16
	v_sub_f16_e32 v30, v30, v16
	v_sub_f16_e32 v4, v6, v9
	v_add_f16_e32 v8, v39, v7
	s_delay_alu instid0(VALU_DEP_4) | instskip(NEXT) | instid1(VALU_DEP_4)
	v_fmac_f16_e32 v36, -0.5, v31
	v_fmamk_f16 v31, v30, 0x3aee, v42
	v_fmac_f16_e32 v42, 0xbaee, v30
	s_delay_alu instid0(VALU_DEP_4) | instskip(NEXT) | instid1(VALU_DEP_4)
	v_add_f16_e32 v8, v8, v19
	v_fmamk_f16 v30, v10, 0xbaee, v36
	v_fmac_f16_e32 v36, 0x3aee, v10
	v_add_f16_e32 v10, v6, v9
	s_delay_alu instid0(VALU_DEP_2) | instskip(NEXT) | instid1(VALU_DEP_2)
	v_pack_b32_f16 v36, v42, v36
	v_fma_f16 v10, -0.5, v10, v41
	v_add_f16_e32 v41, v41, v6
	s_delay_alu instid0(VALU_DEP_1) | instskip(SKIP_2) | instid1(VALU_DEP_3)
	v_add_f16_e32 v6, v41, v9
	v_add_f16_e32 v9, v7, v19
	v_sub_f16_e32 v7, v7, v19
	v_pack_b32_f16 v3, v6, v8
	s_delay_alu instid0(VALU_DEP_3) | instskip(NEXT) | instid1(VALU_DEP_3)
	v_fmac_f16_e32 v39, -0.5, v9
	v_fmamk_f16 v6, v7, 0x3aee, v10
	v_fmac_f16_e32 v10, 0xbaee, v7
	v_mov_b32_e32 v9, v2
	s_delay_alu instid0(VALU_DEP_4) | instskip(SKIP_1) | instid1(VALU_DEP_2)
	v_fmamk_f16 v8, v4, 0xbaee, v39
	v_fmac_f16_e32 v39, 0x3aee, v4
	v_pack_b32_f16 v6, v6, v8
	s_delay_alu instid0(VALU_DEP_2)
	v_pack_b32_f16 v4, v10, v39
	v_lshrrev_b32_e32 v10, 16, v44
	ds_store_2addr_b32 v0, v3, v6 offset1:3
	v_mov_b32_e32 v6, v0
	scratch_store_b32 off, v20, off offset:248 ; 4-byte Folded Spill
	v_add_f16_e32 v0, v37, v11
	v_add_f16_e32 v3, v38, v16
	scratch_store_b32 off, v6, off offset:252 ; 4-byte Folded Spill
	ds_store_b32 v6, v4 offset:24
	ds_store_b32 v9, v36 offset:24
	v_pack_b32_f16 v0, v0, v3
	v_pack_b32_f16 v3, v31, v30
	ds_store_2addr_b32 v2, v0, v3 offset1:3
	v_lshrrev_b32_e32 v0, 16, v40
	v_lshrrev_b32_e32 v3, 16, v129
	;; [unrolled: 1-line block ×3, first 2 shown]
	s_delay_alu instid0(VALU_DEP_2) | instskip(SKIP_1) | instid1(VALU_DEP_3)
	v_mul_f16_e32 v2, v0, v3
	v_mul_f16_e32 v3, v40, v3
	;; [unrolled: 1-line block ×3, first 2 shown]
	s_delay_alu instid0(VALU_DEP_3) | instskip(NEXT) | instid1(VALU_DEP_3)
	v_fma_f16 v2, v40, v129, -v2
	v_fmac_f16_e64 v3, v0, v129
	v_lshrrev_b32_e32 v0, 16, v45
	s_delay_alu instid0(VALU_DEP_2) | instskip(NEXT) | instid1(VALU_DEP_2)
	v_add_f16_e32 v7, v5, v3
	v_fmac_f16_e64 v4, v0, v130
	v_mul_f16_e32 v0, v0, v8
	s_delay_alu instid0(VALU_DEP_2) | instskip(NEXT) | instid1(VALU_DEP_2)
	v_add_f16_e32 v6, v3, v4
	v_fma_f16 v0, v45, v130, -v0
	v_sub_f16_e32 v3, v3, v4
	s_delay_alu instid0(VALU_DEP_3) | instskip(SKIP_1) | instid1(VALU_DEP_4)
	v_fmac_f16_e32 v5, -0.5, v6
	v_add_f16_e32 v6, v43, v2
	v_add_f16_e32 v8, v2, v0
	s_delay_alu instid0(VALU_DEP_2) | instskip(SKIP_3) | instid1(VALU_DEP_2)
	v_add_f16_e32 v6, v6, v0
	v_sub_f16_e32 v0, v2, v0
	v_add_f16_e32 v2, v7, v4
	v_mad_u16 v4, v12, 9, v52
	v_pack_b32_f16 v2, v6, v2
	v_fma_f16 v6, -0.5, v8, v43
	v_fmamk_f16 v8, v0, 0xbaee, v5
	s_delay_alu instid0(VALU_DEP_4) | instskip(SKIP_1) | instid1(VALU_DEP_4)
	v_and_b32_e32 v4, 0xffff, v4
	v_fmac_f16_e32 v5, 0x3aee, v0
	v_fmamk_f16 v7, v3, 0x3aee, v6
	v_fmac_f16_e32 v6, 0xbaee, v3
	s_delay_alu instid0(VALU_DEP_4) | instskip(NEXT) | instid1(VALU_DEP_3)
	v_lshlrev_b32_e32 v4, 2, v4
	v_pack_b32_f16 v7, v7, v8
	s_delay_alu instid0(VALU_DEP_2)
	v_mov_b32_e32 v16, v4
	scratch_store_b32 off, v9, off offset:256 ; 4-byte Folded Spill
	v_lshrrev_b32_e32 v9, 16, v127
	ds_store_2addr_b32 v4, v2, v7 offset1:3
	v_lshrrev_b32_e32 v2, 16, v46
	scratch_store_b32 off, v16, off offset:260 ; 4-byte Folded Spill
	v_lshrrev_b32_e32 v7, 16, v128
	v_mul_f16_e32 v8, v47, v9
	s_delay_alu instid0(VALU_DEP_2) | instskip(SKIP_1) | instid1(VALU_DEP_2)
	v_mul_f16_e32 v4, v2, v7
	v_mul_f16_e32 v7, v46, v7
	v_fma_f16 v4, v46, v128, -v4
	s_delay_alu instid0(VALU_DEP_2) | instskip(SKIP_1) | instid1(VALU_DEP_1)
	v_fmac_f16_e64 v7, v2, v128
	v_lshrrev_b32_e32 v2, 16, v47
	v_fmac_f16_e32 v8, v2, v127
	v_mul_f16_e32 v2, v2, v9
	s_delay_alu instid0(VALU_DEP_2) | instskip(NEXT) | instid1(VALU_DEP_2)
	v_add_f16_e32 v12, v10, v8
	v_fma_f16 v2, v47, v127, -v2
	s_delay_alu instid0(VALU_DEP_2) | instskip(NEXT) | instid1(VALU_DEP_2)
	v_add_f16_e32 v3, v12, v7
	v_add_f16_e32 v9, v2, v4
	v_add_f16_e32 v11, v44, v2
	v_sub_f16_e32 v2, v2, v4
	s_delay_alu instid0(VALU_DEP_3)
	v_fmac_f16_e32 v44, -0.5, v9
	v_add_f16_e32 v9, v8, v7
	v_sub_f16_e32 v8, v8, v7
	v_add_f16_e32 v0, v11, v4
	v_pack_b32_f16 v4, v6, v5
	v_mad_u16 v5, v13, 9, v53
	v_fmac_f16_e32 v10, -0.5, v9
	v_fmamk_f16 v9, v8, 0x3aee, v44
	v_fmac_f16_e32 v44, 0xbaee, v8
	ds_store_b32 v16, v4 offset:24
	v_and_b32_e32 v4, 0xffff, v5
	v_fmamk_f16 v8, v2, 0xbaee, v10
	v_fmac_f16_e32 v10, 0x3aee, v2
	v_pack_b32_f16 v0, v0, v3
	v_lshrrev_b32_e32 v6, 16, v26
	v_lshlrev_b32_e32 v4, 2, v4
	v_pack_b32_f16 v3, v9, v8
	v_pack_b32_f16 v2, v44, v10
	v_lshrrev_b32_e32 v9, 16, v126
	s_delay_alu instid0(VALU_DEP_4)
	v_mov_b32_e32 v10, v4
	ds_store_2addr_b32 v4, v0, v3 offset1:3
	v_lshrrev_b32_e32 v0, 16, v48
	v_lshrrev_b32_e32 v4, 16, v125
	v_mul_f16_e32 v5, v28, v9
	ds_store_b32 v10, v2 offset:24
	v_mul_f16_e32 v3, v0, v4
	v_mul_f16_e32 v4, v48, v4
	s_delay_alu instid0(VALU_DEP_2) | instskip(NEXT) | instid1(VALU_DEP_2)
	v_fma_f16 v3, v48, v125, -v3
	v_fmac_f16_e32 v4, v0, v125
	v_lshrrev_b32_e32 v0, 16, v28
	s_delay_alu instid0(VALU_DEP_2) | instskip(NEXT) | instid1(VALU_DEP_2)
	v_add_f16_e32 v8, v6, v4
	v_fmac_f16_e32 v5, v0, v126
	v_mul_f16_e32 v0, v0, v9
	s_delay_alu instid0(VALU_DEP_2) | instskip(NEXT) | instid1(VALU_DEP_2)
	v_add_f16_e32 v7, v4, v5
	v_fma_f16 v0, v28, v126, -v0
	v_sub_f16_e32 v4, v4, v5
	s_delay_alu instid0(VALU_DEP_3) | instskip(SKIP_1) | instid1(VALU_DEP_4)
	v_fmac_f16_e32 v6, -0.5, v7
	v_add_f16_e32 v7, v26, v3
	v_add_f16_e32 v9, v3, v0
	s_delay_alu instid0(VALU_DEP_2) | instskip(SKIP_3) | instid1(VALU_DEP_3)
	v_add_f16_e32 v7, v7, v0
	v_sub_f16_e32 v0, v3, v0
	v_add_f16_e32 v3, v8, v5
	v_mad_u16 v5, v18, 9, v54
	v_fmamk_f16 v8, v0, 0xbaee, v6
	s_delay_alu instid0(VALU_DEP_3) | instskip(SKIP_1) | instid1(VALU_DEP_4)
	v_pack_b32_f16 v2, v7, v3
	v_fma_f16 v3, -0.5, v9, v26
	v_and_b32_e32 v5, 0xffff, v5
	v_fmac_f16_e32 v6, 0x3aee, v0
	v_lshrrev_b32_e32 v0, 16, v24
	s_delay_alu instid0(VALU_DEP_4) | instskip(NEXT) | instid1(VALU_DEP_4)
	v_fmamk_f16 v7, v4, 0x3aee, v3
	v_lshlrev_b32_e32 v5, 2, v5
	v_fmac_f16_e32 v3, 0xbaee, v4
	v_lshrrev_b32_e32 v4, 16, v182
	s_delay_alu instid0(VALU_DEP_4) | instskip(NEXT) | instid1(VALU_DEP_4)
	v_pack_b32_f16 v7, v7, v8
	v_mov_b32_e32 v11, v5
	v_lshrrev_b32_e32 v8, 16, v27
	scratch_store_b32 off, v10, off offset:264 ; 4-byte Folded Spill
	v_pack_b32_f16 v3, v3, v6
	ds_store_2addr_b32 v5, v2, v7 offset1:3
	v_lshrrev_b32_e32 v2, 16, v29
	v_lshrrev_b32_e32 v7, 16, v183
	ds_store_b32 v11, v3 offset:24
	v_mul_f16_e32 v5, v2, v7
	v_mul_f16_e32 v7, v29, v7
	s_delay_alu instid0(VALU_DEP_2) | instskip(NEXT) | instid1(VALU_DEP_2)
	v_fma_f16 v5, v29, v183, -v5
	v_fmac_f16_e64 v7, v2, v183
	v_mul_f16_e32 v2, v24, v4
	s_delay_alu instid0(VALU_DEP_1) | instskip(SKIP_1) | instid1(VALU_DEP_2)
	v_fmac_f16_e64 v2, v0, v182
	v_mul_f16_e32 v0, v0, v4
	v_add_f16_e32 v10, v8, v2
	s_delay_alu instid0(VALU_DEP_2) | instskip(NEXT) | instid1(VALU_DEP_1)
	v_fma_f16 v0, v24, v182, -v0
	v_add_f16_e32 v4, v0, v5
	v_add_f16_e32 v9, v27, v0
	v_sub_f16_e32 v0, v0, v5
	s_delay_alu instid0(VALU_DEP_3) | instskip(SKIP_2) | instid1(VALU_DEP_2)
	v_fmac_f16_e32 v27, -0.5, v4
	v_add_f16_e32 v4, v2, v7
	v_sub_f16_e32 v2, v2, v7
	v_fmac_f16_e32 v8, -0.5, v4
	v_add_f16_e32 v4, v10, v7
	v_add_f16_e32 v7, v9, v5
	v_mad_u16 v5, v33, 9, v35
	v_fmamk_f16 v6, v2, 0x3aee, v27
	v_fmac_f16_e32 v27, 0xbaee, v2
	v_lshrrev_b32_e32 v2, 16, v25
	v_pack_b32_f16 v4, v7, v4
	v_fmamk_f16 v7, v0, 0xbaee, v8
	v_and_b32_e32 v3, 0xffff, v5
	v_fmac_f16_e32 v8, 0x3aee, v0
	s_delay_alu instid0(VALU_DEP_3) | instskip(NEXT) | instid1(VALU_DEP_3)
	v_pack_b32_f16 v6, v6, v7
	v_lshlrev_b32_e32 v3, 2, v3
	s_delay_alu instid0(VALU_DEP_3)
	v_pack_b32_f16 v0, v27, v8
	v_lshrrev_b32_e32 v7, 16, v14
	ds_store_2addr_b32 v3, v4, v6 offset1:3
	v_lshrrev_b32_e32 v4, 16, v123
	v_mov_b32_e32 v10, v3
	v_lshrrev_b32_e32 v6, 16, v124
	s_delay_alu instid0(VALU_DEP_3)
	v_mul_f16_e32 v3, v2, v4
	v_mul_f16_e32 v4, v25, v4
	ds_store_b32 v10, v0 offset:24
	v_fma_f16 v3, v25, v123, -v3
	v_fmac_f16_e32 v4, v2, v123
	v_lshrrev_b32_e32 v2, 16, v34
	s_delay_alu instid0(VALU_DEP_3) | instskip(NEXT) | instid1(VALU_DEP_3)
	v_add_f16_e32 v8, v14, v3
	v_add_f16_e32 v9, v7, v4
	s_delay_alu instid0(VALU_DEP_3) | instskip(SKIP_1) | instid1(VALU_DEP_2)
	v_mul_f16_e32 v5, v2, v6
	v_mul_f16_e32 v6, v34, v6
	v_fma_f16 v5, v34, v124, -v5
	s_delay_alu instid0(VALU_DEP_2) | instskip(NEXT) | instid1(VALU_DEP_2)
	v_fmac_f16_e32 v6, v2, v124
	v_add_f16_e32 v2, v3, v5
	s_delay_alu instid0(VALU_DEP_1) | instskip(NEXT) | instid1(VALU_DEP_3)
	v_fmac_f16_e32 v14, -0.5, v2
	v_add_f16_e32 v2, v4, v6
	s_delay_alu instid0(VALU_DEP_1) | instskip(SKIP_2) | instid1(VALU_DEP_2)
	v_fmac_f16_e32 v7, -0.5, v2
	v_sub_f16_e32 v2, v4, v6
	v_add_f16_e32 v6, v9, v6
	v_fmamk_f16 v4, v2, 0x3aee, v14
	v_fmac_f16_e32 v14, 0xbaee, v2
	v_sub_f16_e32 v2, v3, v5
	v_add_f16_e32 v5, v8, v5
	s_delay_alu instid0(VALU_DEP_2) | instskip(SKIP_1) | instid1(VALU_DEP_3)
	v_fmamk_f16 v3, v2, 0xbaee, v7
	v_fmac_f16_e32 v7, 0x3aee, v2
	v_pack_b32_f16 v5, v5, v6
	s_delay_alu instid0(VALU_DEP_3) | instskip(NEXT) | instid1(VALU_DEP_3)
	v_pack_b32_f16 v3, v4, v3
	v_pack_b32_f16 v2, v14, v7
	v_mad_u16 v7, v15, 9, v32
	s_delay_alu instid0(VALU_DEP_1) | instskip(NEXT) | instid1(VALU_DEP_1)
	v_and_b32_e32 v0, 0xffff, v7
	v_lshlrev_b32_e32 v0, 2, v0
	s_clause 0x2
	scratch_store_b32 off, v11, off offset:268
	scratch_store_b32 off, v10, off offset:276
	;; [unrolled: 1-line block ×3, first 2 shown]
	ds_store_2addr_b32 v0, v5, v3 offset1:3
	ds_store_b32 v0, v2 offset:24
	v_mul_u32_u24_e32 v0, 0xe38f, v58
	v_mul_u32_u24_e32 v2, 0xe38f, v77
	;; [unrolled: 1-line block ×3, first 2 shown]
	s_waitcnt lgkmcnt(0)
	s_waitcnt_vscnt null, 0x0
	s_barrier
	v_lshrrev_b32_e32 v40, 19, v0
	v_lshrrev_b32_e32 v2, 19, v2
	v_lshrrev_b32_e32 v3, 19, v3
	buffer_gl0_inv
	v_mul_lo_u16 v0, v40, 9
	v_mul_lo_u16 v4, v2, 9
	;; [unrolled: 1-line block ×3, first 2 shown]
	s_delay_alu instid0(VALU_DEP_3) | instskip(NEXT) | instid1(VALU_DEP_3)
	v_sub_nc_u16 v41, v85, v0
	v_sub_nc_u16 v4, v84, v4
	s_delay_alu instid0(VALU_DEP_3) | instskip(NEXT) | instid1(VALU_DEP_3)
	v_sub_nc_u16 v5, v98, v5
	v_lshlrev_b16 v0, 3, v41
	s_delay_alu instid0(VALU_DEP_3) | instskip(NEXT) | instid1(VALU_DEP_3)
	v_lshlrev_b16 v6, 3, v4
	v_lshlrev_b16 v7, 3, v5
	v_mad_u16 v2, v2, 27, v4
	v_mad_u16 v3, v3, 27, v5
	v_and_b32_e32 v0, 0xffff, v0
	v_and_b32_e32 v6, 0xffff, v6
	;; [unrolled: 1-line block ×5, first 2 shown]
	v_add_co_u32 v14, s2, s6, v0
	v_mul_lo_u16 v0, v59, 57
	v_add_co_ci_u32_e64 v15, null, s7, 0, s2
	v_add_co_u32 v24, s2, s6, v6
	s_delay_alu instid0(VALU_DEP_3) | instskip(SKIP_2) | instid1(VALU_DEP_3)
	v_lshrrev_b16 v30, 9, v0
	v_add_co_ci_u32_e64 v25, null, s7, 0, s2
	v_add_co_u32 v28, s2, s6, v7
	v_mul_lo_u16 v0, v30, 9
	v_add_co_ci_u32_e64 v29, null, s7, 0, s2
	s_clause 0x2
	global_load_b64 v[142:143], v[14:15], off offset:24
	global_load_b64 v[26:27], v[24:25], off offset:24
	;; [unrolled: 1-line block ×3, first 2 shown]
	v_sub_nc_u16 v0, v1, v0
	ds_load_2addr_b32 v[31:32], v187 offset0:6 offset1:249
	ds_load_2addr_b32 v[42:43], v179 offset0:6 offset1:249
	;; [unrolled: 1-line block ×3, first 2 shown]
	v_lshlrev_b32_e32 v2, 2, v2
	v_and_b32_e32 v0, 0xff, v0
	v_lshlrev_b32_e32 v3, 2, v3
	s_delay_alu instid0(VALU_DEP_2)
	v_lshlrev_b32_e32 v6, 3, v0
	global_load_b64 v[24:25], v6, s[6:7] offset:24
	s_waitcnt lgkmcnt(2)
	v_lshrrev_b32_e32 v6, 16, v32
	v_lshrrev_b32_e32 v8, 16, v31
	s_waitcnt vmcnt(3)
	v_lshrrev_b32_e32 v10, 16, v143
	v_lshrrev_b32_e32 v13, 16, v142
	s_delay_alu instid0(VALU_DEP_2) | instskip(SKIP_1) | instid1(VALU_DEP_2)
	v_mul_f16_e32 v7, v6, v10
	v_mul_f16_e32 v10, v32, v10
	v_fma_f16 v7, v32, v143, -v7
	s_delay_alu instid0(VALU_DEP_2)
	v_fmac_f16_e64 v10, v6, v143
	s_waitcnt lgkmcnt(1)
	v_lshrrev_b32_e32 v6, 16, v42
	s_waitcnt vmcnt(0)
	v_lshrrev_b32_e32 v12, 16, v25
	v_lshrrev_b32_e32 v20, 16, v24
	s_delay_alu instid0(VALU_DEP_2) | instskip(SKIP_2) | instid1(VALU_DEP_3)
	v_mul_f16_e32 v9, v8, v12
	v_mul_f16_e32 v11, v31, v12
	;; [unrolled: 1-line block ×3, first 2 shown]
	v_fma_f16 v9, v31, v25, -v9
	ds_load_2addr_b32 v[31:32], v122 offset1:243
	v_fmac_f16_e64 v12, v6, v142
	v_mul_f16_e32 v6, v6, v13
	v_fmac_f16_e32 v11, v8, v25
	s_delay_alu instid0(VALU_DEP_2) | instskip(NEXT) | instid1(VALU_DEP_1)
	v_fma_f16 v6, v42, v142, -v6
	v_add_f16_e32 v13, v6, v7
	s_waitcnt lgkmcnt(0)
	v_lshrrev_b32_e32 v14, 16, v32
	v_add_f16_e32 v15, v32, v6
	s_delay_alu instid0(VALU_DEP_3)
	v_fmac_f16_e32 v32, -0.5, v13
	v_add_f16_e32 v13, v12, v10
	v_sub_f16_e32 v6, v6, v7
	v_add_f16_e32 v16, v14, v12
	v_sub_f16_e32 v12, v12, v10
	v_lshrrev_b32_e32 v19, 16, v31
	v_fmac_f16_e32 v14, -0.5, v13
	s_delay_alu instid0(VALU_DEP_3) | instskip(SKIP_1) | instid1(VALU_DEP_3)
	v_fmamk_f16 v13, v12, 0x3aee, v32
	v_fmac_f16_e32 v32, 0xbaee, v12
	v_fmamk_f16 v12, v6, 0xbaee, v14
	v_fmac_f16_e32 v14, 0x3aee, v6
	v_lshrrev_b32_e32 v6, 16, v45
	s_delay_alu instid0(VALU_DEP_2) | instskip(NEXT) | instid1(VALU_DEP_2)
	v_pack_b32_f16 v14, v32, v14
	v_mul_f16_e32 v17, v6, v20
	v_mul_f16_e32 v32, v45, v20
	s_delay_alu instid0(VALU_DEP_2) | instskip(NEXT) | instid1(VALU_DEP_2)
	v_fma_f16 v17, v45, v24, -v17
	v_fmac_f16_e32 v32, v6, v24
	s_delay_alu instid0(VALU_DEP_2) | instskip(SKIP_1) | instid1(VALU_DEP_3)
	v_add_f16_e32 v18, v17, v9
	v_sub_f16_e32 v6, v17, v9
	v_sub_f16_e32 v42, v32, v11
	s_delay_alu instid0(VALU_DEP_3) | instskip(SKIP_2) | instid1(VALU_DEP_2)
	v_fma_f16 v18, -0.5, v18, v31
	v_add_f16_e32 v31, v31, v17
	v_add_f16_e32 v17, v32, v11
	;; [unrolled: 1-line block ×4, first 2 shown]
	s_delay_alu instid0(VALU_DEP_3) | instskip(SKIP_1) | instid1(VALU_DEP_3)
	v_fmac_f16_e32 v19, -0.5, v17
	v_mul_u32_u24_e32 v32, 0xe38f, v101
	v_add_f16_e32 v9, v9, v11
	v_and_b32_e32 v11, 0xffff, v30
	s_delay_alu instid0(VALU_DEP_3) | instskip(SKIP_1) | instid1(VALU_DEP_3)
	v_lshrrev_b32_e32 v57, 19, v32
	v_mul_u32_u24_e32 v32, 0xe38f, v100
	v_mul_u32_u24_e32 v11, 27, v11
	s_delay_alu instid0(VALU_DEP_2) | instskip(SKIP_1) | instid1(VALU_DEP_3)
	v_lshrrev_b32_e32 v66, 19, v32
	v_mul_u32_u24_e32 v32, 0xe38f, v99
	v_add_lshl_u32 v20, v11, v0, 2
	v_pack_b32_f16 v0, v8, v9
	v_fmamk_f16 v8, v42, 0x3aee, v18
	v_fmamk_f16 v9, v6, 0xbaee, v19
	v_lshrrev_b32_e32 v67, 19, v32
	v_mul_lo_u16 v33, v66, 9
	v_fmac_f16_e32 v18, 0xbaee, v42
	v_fmac_f16_e32 v19, 0x3aee, v6
	v_pack_b32_f16 v8, v8, v9
	v_mul_u32_u24_e32 v9, 0xe38f, v79
	v_sub_nc_u16 v70, v112, v33
	v_mul_lo_u16 v34, v67, 9
	v_add_f16_e32 v6, v16, v10
	v_lshrrev_b32_e32 v16, 16, v27
	v_lshrrev_b32_e32 v9, 19, v9
	v_lshlrev_b16 v35, 3, v70
	v_sub_nc_u16 v71, v141, v34
	s_delay_alu instid0(VALU_DEP_3) | instskip(NEXT) | instid1(VALU_DEP_3)
	v_mul_lo_u16 v11, v9, 9
	v_and_b32_e32 v36, 0xffff, v35
	s_delay_alu instid0(VALU_DEP_3) | instskip(NEXT) | instid1(VALU_DEP_3)
	v_lshlrev_b16 v35, 3, v71
	v_sub_nc_u16 v11, v115, v11
	s_delay_alu instid0(VALU_DEP_2) | instskip(NEXT) | instid1(VALU_DEP_2)
	v_and_b32_e32 v38, 0xffff, v35
	v_lshlrev_b16 v17, 3, v11
	s_delay_alu instid0(VALU_DEP_1) | instskip(NEXT) | instid1(VALU_DEP_1)
	v_and_b32_e32 v17, 0xffff, v17
	v_add_co_u32 v30, s2, s6, v17
	s_delay_alu instid0(VALU_DEP_1) | instskip(SKIP_3) | instid1(VALU_DEP_1)
	v_add_co_ci_u32_e64 v31, null, s7, 0, s2
	v_mul_u32_u24_e32 v17, 0xe38f, v78
	global_load_b64 v[30:31], v[30:31], off offset:24
	v_lshrrev_b32_e32 v17, 19, v17
	v_mul_lo_u16 v32, v17, 9
	s_delay_alu instid0(VALU_DEP_1) | instskip(SKIP_1) | instid1(VALU_DEP_1)
	v_sub_nc_u16 v68, v113, v32
	v_mul_lo_u16 v32, v57, 9
	v_sub_nc_u16 v69, v114, v32
	s_delay_alu instid0(VALU_DEP_3) | instskip(NEXT) | instid1(VALU_DEP_2)
	v_lshlrev_b16 v32, 3, v68
	v_lshlrev_b16 v34, 3, v69
	s_delay_alu instid0(VALU_DEP_2) | instskip(NEXT) | instid1(VALU_DEP_2)
	v_and_b32_e32 v32, 0xffff, v32
	v_and_b32_e32 v34, 0xffff, v34
	s_delay_alu instid0(VALU_DEP_2) | instskip(NEXT) | instid1(VALU_DEP_1)
	v_add_co_u32 v32, s2, s6, v32
	v_add_co_ci_u32_e64 v33, null, s7, 0, s2
	s_delay_alu instid0(VALU_DEP_3) | instskip(NEXT) | instid1(VALU_DEP_1)
	v_add_co_u32 v34, s2, s6, v34
	v_add_co_ci_u32_e64 v35, null, s7, 0, s2
	global_load_b64 v[32:33], v[32:33], off offset:24
	v_add_co_u32 v36, s2, s6, v36
	s_delay_alu instid0(VALU_DEP_1) | instskip(SKIP_1) | instid1(VALU_DEP_1)
	v_add_co_ci_u32_e64 v37, null, s7, 0, s2
	v_add_co_u32 v38, s2, s6, v38
	v_add_co_ci_u32_e64 v39, null, s7, 0, s2
	s_clause 0x2
	global_load_b64 v[34:35], v[34:35], off offset:24
	global_load_b64 v[36:37], v[36:37], off offset:24
	;; [unrolled: 1-line block ×3, first 2 shown]
	ds_load_b32 v72, v122 offset:25272
	ds_load_2addr_b32 v[45:46], v176 offset0:6 offset1:249
	ds_load_2addr_b32 v[47:48], v181 offset0:12 offset1:255
	ds_load_2addr_b32 v[49:50], v163 offset0:4 offset1:247
	ds_load_2addr_b32 v[51:52], v159 offset0:12 offset1:255
	ds_load_2addr_b32 v[53:54], v161 offset0:2 offset1:245
	ds_load_2addr_b32 v[55:56], v149 offset0:10 offset1:253
	ds_load_2addr_b32 v[60:61], v144 offset0:2 offset1:245
	ds_load_2addr_b32 v[62:63], v146 offset0:8 offset1:251
	ds_load_2addr_b32 v[64:65], v171 offset1:243
	s_waitcnt vmcnt(0) lgkmcnt(0)
	s_barrier
	buffer_gl0_inv
	ds_store_2addr_b32 v20, v0, v8 offset1:9
	v_add_f16_e32 v0, v15, v7
	v_pack_b32_f16 v7, v18, v19
	v_mad_u16 v8, v40, 27, v41
	s_delay_alu instid0(VALU_DEP_3)
	v_pack_b32_f16 v0, v0, v6
	ds_store_b32 v20, v7 offset:72
	v_and_b32_e32 v7, 0xffff, v8
	v_pack_b32_f16 v6, v13, v12
	v_mul_f16_e32 v8, v47, v16
	v_lshrrev_b32_e32 v10, 16, v45
	s_delay_alu instid0(VALU_DEP_4)
	v_lshlrev_b32_e32 v7, 2, v7
	ds_store_2addr_b32 v7, v0, v6 offset1:9
	v_mov_b32_e32 v15, v7
	v_lshrrev_b32_e32 v0, 16, v43
	v_lshrrev_b32_e32 v7, 16, v26
	s_clause 0x1
	scratch_store_b32 off, v20, off offset:284
	scratch_store_b32 off, v15, off offset:280
	ds_store_b32 v15, v14 offset:72
	v_mul_f16_e32 v6, v0, v7
	v_mul_f16_e32 v7, v43, v7
	v_mov_b32_e32 v15, v2
	s_delay_alu instid0(VALU_DEP_3) | instskip(NEXT) | instid1(VALU_DEP_3)
	v_fma_f16 v6, v43, v26, -v6
	v_fmac_f16_e32 v7, v0, v26
	v_lshrrev_b32_e32 v0, 16, v47
	s_delay_alu instid0(VALU_DEP_2) | instskip(NEXT) | instid1(VALU_DEP_2)
	v_add_f16_e32 v12, v10, v7
	v_fmac_f16_e32 v8, v0, v27
	v_mul_f16_e32 v0, v0, v16
	s_delay_alu instid0(VALU_DEP_2) | instskip(NEXT) | instid1(VALU_DEP_2)
	v_add_f16_e32 v13, v7, v8
	v_fma_f16 v0, v47, v27, -v0
	v_sub_f16_e32 v7, v7, v8
	v_add_f16_e32 v8, v12, v8
	v_add_f16_e32 v12, v45, v6
	v_fmac_f16_e32 v10, -0.5, v13
	v_add_f16_e32 v13, v6, v0
	s_delay_alu instid0(VALU_DEP_3) | instskip(SKIP_1) | instid1(VALU_DEP_3)
	v_add_f16_e32 v12, v12, v0
	v_sub_f16_e32 v0, v6, v0
	v_fma_f16 v6, -0.5, v13, v45
	s_delay_alu instid0(VALU_DEP_3) | instskip(NEXT) | instid1(VALU_DEP_3)
	v_pack_b32_f16 v4, v12, v8
	v_fmamk_f16 v12, v0, 0xbaee, v10
	s_delay_alu instid0(VALU_DEP_3)
	v_fmamk_f16 v8, v7, 0x3aee, v6
	v_fmac_f16_e32 v6, 0xbaee, v7
	v_lshrrev_b32_e32 v7, 16, v28
	v_fmac_f16_e32 v10, 0x3aee, v0
	v_lshrrev_b32_e32 v0, 16, v49
	v_pack_b32_f16 v8, v8, v12
	v_lshrrev_b32_e32 v12, 16, v46
	s_delay_alu instid0(VALU_DEP_4)
	v_pack_b32_f16 v6, v6, v10
	v_mov_b32_e32 v10, v3
	scratch_store_b32 off, v15, off offset:288 ; 4-byte Folded Spill
	ds_store_2addr_b32 v2, v4, v8 offset1:9
	v_lshrrev_b32_e32 v2, 16, v48
	v_lshrrev_b32_e32 v8, 16, v29
	scratch_store_b32 off, v10, off offset:292 ; 4-byte Folded Spill
	ds_store_b32 v15, v6 offset:72
	v_mul_f16_e32 v4, v2, v8
	v_mul_f16_e32 v8, v48, v8
	s_delay_alu instid0(VALU_DEP_2) | instskip(NEXT) | instid1(VALU_DEP_2)
	v_fma_f16 v4, v48, v29, -v4
	v_fmac_f16_e32 v8, v2, v29
	v_mul_f16_e32 v2, v49, v7
	s_delay_alu instid0(VALU_DEP_1) | instskip(SKIP_1) | instid1(VALU_DEP_2)
	v_fmac_f16_e32 v2, v0, v28
	v_mul_f16_e32 v0, v0, v7
	v_add_f16_e32 v14, v2, v8
	s_delay_alu instid0(VALU_DEP_2) | instskip(NEXT) | instid1(VALU_DEP_1)
	v_fma_f16 v0, v49, v28, -v0
	v_add_f16_e32 v7, v0, v4
	v_add_f16_e32 v13, v46, v0
	v_sub_f16_e32 v0, v0, v4
	s_delay_alu instid0(VALU_DEP_3) | instskip(SKIP_3) | instid1(VALU_DEP_3)
	v_fmac_f16_e32 v46, -0.5, v7
	v_add_f16_e32 v7, v12, v2
	v_sub_f16_e32 v2, v2, v8
	v_fmac_f16_e32 v12, -0.5, v14
	v_add_f16_e32 v7, v7, v8
	v_add_f16_e32 v8, v13, v4
	s_delay_alu instid0(VALU_DEP_4) | instskip(NEXT) | instid1(VALU_DEP_4)
	v_fmamk_f16 v5, v2, 0x3aee, v46
	v_fmamk_f16 v6, v0, 0xbaee, v12
	v_fmac_f16_e32 v46, 0xbaee, v2
	v_fmac_f16_e32 v12, 0x3aee, v0
	v_pack_b32_f16 v4, v8, v7
	v_lshrrev_b32_e32 v2, 16, v50
	v_pack_b32_f16 v5, v5, v6
	v_lshrrev_b32_e32 v6, 16, v51
	v_pack_b32_f16 v0, v46, v12
	ds_store_2addr_b32 v3, v4, v5 offset1:9
	ds_store_b32 v10, v0 offset:72
	v_mad_u16 v0, v9, 27, v11
	s_delay_alu instid0(VALU_DEP_1) | instskip(NEXT) | instid1(VALU_DEP_1)
	v_and_b32_e32 v0, 0xffff, v0
	v_lshlrev_b32_e32 v0, 2, v0
	s_delay_alu instid0(VALU_DEP_1) | instskip(SKIP_2) | instid1(VALU_DEP_2)
	v_mov_b32_e32 v11, v0
	v_lshrrev_b32_e32 v4, 16, v30
	v_lshrrev_b32_e32 v12, 16, v31
	v_mul_f16_e32 v3, v2, v4
	v_mul_f16_e32 v4, v50, v4
	s_delay_alu instid0(VALU_DEP_3) | instskip(NEXT) | instid1(VALU_DEP_3)
	v_mul_f16_e32 v5, v53, v12
	v_fma_f16 v3, v50, v30, -v3
	s_delay_alu instid0(VALU_DEP_3) | instskip(SKIP_1) | instid1(VALU_DEP_2)
	v_fmac_f16_e32 v4, v2, v30
	v_lshrrev_b32_e32 v2, 16, v53
	v_add_f16_e32 v7, v6, v4
	s_delay_alu instid0(VALU_DEP_2) | instskip(SKIP_1) | instid1(VALU_DEP_2)
	v_fmac_f16_e32 v5, v2, v31
	v_mul_f16_e32 v2, v2, v12
	v_add_f16_e32 v8, v4, v5
	v_sub_f16_e32 v4, v4, v5
	v_add_f16_e32 v5, v7, v5
	s_delay_alu instid0(VALU_DEP_4) | instskip(SKIP_2) | instid1(VALU_DEP_3)
	v_fma_f16 v2, v53, v31, -v2
	v_add_f16_e32 v7, v51, v3
	v_fmac_f16_e32 v6, -0.5, v8
	v_add_f16_e32 v8, v3, v2
	s_delay_alu instid0(VALU_DEP_3) | instskip(SKIP_1) | instid1(VALU_DEP_2)
	v_add_f16_e32 v7, v7, v2
	v_sub_f16_e32 v2, v3, v2
	v_pack_b32_f16 v3, v7, v5
	s_delay_alu instid0(VALU_DEP_4) | instskip(NEXT) | instid1(VALU_DEP_3)
	v_fma_f16 v5, -0.5, v8, v51
	v_fmamk_f16 v8, v2, 0xbaee, v6
	v_fmac_f16_e32 v6, 0x3aee, v2
	s_delay_alu instid0(VALU_DEP_3) | instskip(SKIP_3) | instid1(VALU_DEP_4)
	v_fmamk_f16 v7, v4, 0x3aee, v5
	v_fmac_f16_e32 v5, 0xbaee, v4
	v_lshrrev_b32_e32 v4, 16, v32
	v_lshrrev_b32_e32 v186, 16, v37
	v_pack_b32_f16 v7, v7, v8
	v_lshrrev_b32_e32 v8, 16, v52
	s_delay_alu instid0(VALU_DEP_4)
	v_mul_f16_e32 v2, v55, v4
	v_pack_b32_f16 v5, v5, v6
	v_lshrrev_b32_e32 v170, 16, v38
	ds_store_2addr_b32 v0, v3, v7 offset1:9
	v_lshrrev_b32_e32 v0, 16, v54
	v_lshrrev_b32_e32 v7, 16, v33
	ds_store_b32 v11, v5 offset:72
	v_lshrrev_b32_e32 v177, 16, v39
	v_mul_f16_e32 v3, v0, v7
	v_mul_f16_e32 v7, v54, v7
	s_delay_alu instid0(VALU_DEP_2) | instskip(NEXT) | instid1(VALU_DEP_2)
	v_fma_f16 v3, v54, v33, -v3
	v_fmac_f16_e32 v7, v0, v33
	v_lshrrev_b32_e32 v0, 16, v55
	s_delay_alu instid0(VALU_DEP_1) | instskip(SKIP_1) | instid1(VALU_DEP_2)
	v_fmac_f16_e32 v2, v0, v32
	v_mul_f16_e32 v0, v0, v4
	v_add_f16_e32 v10, v2, v7
	s_delay_alu instid0(VALU_DEP_2) | instskip(NEXT) | instid1(VALU_DEP_1)
	v_fma_f16 v0, v55, v32, -v0
	v_add_f16_e32 v4, v0, v3
	v_add_f16_e32 v9, v52, v0
	v_sub_f16_e32 v0, v0, v3
	s_delay_alu instid0(VALU_DEP_3)
	v_fmac_f16_e32 v52, -0.5, v4
	v_add_f16_e32 v4, v8, v2
	v_sub_f16_e32 v2, v2, v7
	v_fmac_f16_e32 v8, -0.5, v10
	v_add_f16_e32 v6, v9, v3
	v_mad_u16 v3, v17, 27, v68
	v_add_f16_e32 v4, v4, v7
	v_fmamk_f16 v5, v2, 0x3aee, v52
	v_fmac_f16_e32 v52, 0xbaee, v2
	v_lshrrev_b32_e32 v2, 16, v56
	v_and_b32_e32 v3, 0xffff, v3
	v_pack_b32_f16 v4, v6, v4
	v_fmamk_f16 v6, v0, 0xbaee, v8
	v_lshrrev_b32_e32 v10, 16, v35
	v_fmac_f16_e32 v8, 0x3aee, v0
	v_lshlrev_b32_e32 v3, 2, v3
	s_delay_alu instid0(VALU_DEP_4) | instskip(SKIP_1) | instid1(VALU_DEP_4)
	v_pack_b32_f16 v5, v5, v6
	v_lshrrev_b32_e32 v6, 16, v60
	v_pack_b32_f16 v0, v52, v8
	s_delay_alu instid0(VALU_DEP_4)
	v_mov_b32_e32 v9, v3
	scratch_store_b32 off, v11, off offset:296 ; 4-byte Folded Spill
	ds_store_2addr_b32 v3, v4, v5 offset1:9
	v_lshrrev_b32_e32 v4, 16, v34
	v_mul_f16_e32 v5, v62, v10
	ds_store_b32 v9, v0 offset:72
	v_mad_u16 v0, v57, 27, v69
	v_mul_f16_e32 v3, v2, v4
	v_mul_f16_e32 v4, v56, v4
	s_delay_alu instid0(VALU_DEP_3) | instskip(NEXT) | instid1(VALU_DEP_3)
	v_and_b32_e32 v0, 0xffff, v0
	v_fma_f16 v3, v56, v34, -v3
	s_delay_alu instid0(VALU_DEP_3) | instskip(SKIP_1) | instid1(VALU_DEP_4)
	v_fmac_f16_e32 v4, v2, v34
	v_lshrrev_b32_e32 v2, 16, v62
	v_lshlrev_b32_e32 v0, 2, v0
	s_delay_alu instid0(VALU_DEP_3) | instskip(NEXT) | instid1(VALU_DEP_3)
	v_add_f16_e32 v7, v6, v4
	v_fmac_f16_e32 v5, v2, v35
	v_mul_f16_e32 v2, v2, v10
	s_delay_alu instid0(VALU_DEP_4)
	v_mov_b32_e32 v11, v0
	scratch_store_b32 off, v9, off offset:300 ; 4-byte Folded Spill
	v_add_f16_e32 v8, v4, v5
	v_sub_f16_e32 v4, v4, v5
	v_add_f16_e32 v5, v7, v5
	v_fma_f16 v2, v62, v35, -v2
	v_add_f16_e32 v7, v60, v3
	v_fmac_f16_e32 v6, -0.5, v8
	s_delay_alu instid0(VALU_DEP_3) | instskip(NEXT) | instid1(VALU_DEP_3)
	v_add_f16_e32 v8, v3, v2
	v_add_f16_e32 v7, v7, v2
	v_sub_f16_e32 v2, v3, v2
	s_delay_alu instid0(VALU_DEP_2) | instskip(NEXT) | instid1(VALU_DEP_4)
	v_pack_b32_f16 v3, v7, v5
	v_fma_f16 v5, -0.5, v8, v60
	s_delay_alu instid0(VALU_DEP_3) | instskip(SKIP_1) | instid1(VALU_DEP_3)
	v_fmamk_f16 v8, v2, 0xbaee, v6
	v_fmac_f16_e32 v6, 0x3aee, v2
	v_fmamk_f16 v7, v4, 0x3aee, v5
	v_fmac_f16_e32 v5, 0xbaee, v4
	v_lshrrev_b32_e32 v4, 16, v36
	s_delay_alu instid0(VALU_DEP_3) | instskip(SKIP_1) | instid1(VALU_DEP_3)
	v_pack_b32_f16 v7, v7, v8
	v_lshrrev_b32_e32 v8, 16, v61
	v_mul_f16_e32 v2, v64, v4
	v_pack_b32_f16 v5, v5, v6
	ds_store_2addr_b32 v0, v3, v7 offset1:9
	v_lshrrev_b32_e32 v0, 16, v63
	v_mul_f16_e64 v7, v63, v186
	ds_store_b32 v11, v5 offset:72
	v_mul_f16_e64 v3, v0, v186
	v_fmac_f16_e32 v7, v0, v37
	v_lshrrev_b32_e32 v0, 16, v64
	s_delay_alu instid0(VALU_DEP_3) | instskip(NEXT) | instid1(VALU_DEP_2)
	v_fma_f16 v3, v63, v37, -v3
	v_fmac_f16_e32 v2, v0, v36
	v_mul_f16_e32 v0, v0, v4
	s_delay_alu instid0(VALU_DEP_2) | instskip(NEXT) | instid1(VALU_DEP_2)
	v_add_f16_e32 v10, v2, v7
	v_fma_f16 v0, v64, v36, -v0
	s_delay_alu instid0(VALU_DEP_1) | instskip(SKIP_2) | instid1(VALU_DEP_3)
	v_add_f16_e32 v4, v0, v3
	v_add_f16_e32 v9, v61, v0
	v_sub_f16_e32 v0, v0, v3
	v_fmac_f16_e32 v61, -0.5, v4
	v_add_f16_e32 v4, v8, v2
	v_sub_f16_e32 v2, v2, v7
	v_fmac_f16_e32 v8, -0.5, v10
	v_add_f16_e32 v6, v9, v3
	v_mad_u16 v3, v66, 27, v70
	v_add_f16_e32 v4, v4, v7
	v_fmamk_f16 v5, v2, 0x3aee, v61
	v_fmac_f16_e32 v61, 0xbaee, v2
	v_lshrrev_b32_e32 v2, 16, v65
	v_and_b32_e32 v3, 0xffff, v3
	v_pack_b32_f16 v4, v6, v4
	v_fmamk_f16 v6, v0, 0xbaee, v8
	v_fmac_f16_e32 v8, 0x3aee, v0
	v_lshrrev_b32_e32 v7, 16, v44
	v_lshlrev_b32_e32 v3, 2, v3
	s_delay_alu instid0(VALU_DEP_4) | instskip(SKIP_2) | instid1(VALU_DEP_4)
	v_pack_b32_f16 v5, v5, v6
	v_mul_f16_e64 v6, v72, v177
	v_pack_b32_f16 v0, v61, v8
	v_mov_b32_e32 v10, v3
	ds_store_2addr_b32 v3, v4, v5 offset1:9
	v_mul_f16_e64 v4, v65, v170
	v_mul_f16_e64 v3, v2, v170
	ds_store_b32 v10, v0 offset:72
	v_fmac_f16_e32 v4, v2, v38
	v_lshrrev_b32_e32 v2, 16, v72
	v_fma_f16 v3, v65, v38, -v3
	s_delay_alu instid0(VALU_DEP_2) | instskip(SKIP_1) | instid1(VALU_DEP_3)
	v_mul_f16_e64 v5, v2, v177
	v_fmac_f16_e32 v6, v2, v39
	v_add_f16_e32 v8, v44, v3
	s_delay_alu instid0(VALU_DEP_3) | instskip(NEXT) | instid1(VALU_DEP_1)
	v_fma_f16 v5, v72, v39, -v5
	v_add_f16_e32 v2, v3, v5
	s_delay_alu instid0(VALU_DEP_1) | instskip(SKIP_1) | instid1(VALU_DEP_1)
	v_fmac_f16_e32 v44, -0.5, v2
	v_sub_f16_e32 v2, v4, v6
	v_fmamk_f16 v9, v2, 0x3aee, v44
	v_fmac_f16_e32 v44, 0xbaee, v2
	v_add_f16_e32 v2, v4, v6
	v_add_f16_e32 v4, v7, v4
	s_delay_alu instid0(VALU_DEP_2) | instskip(SKIP_2) | instid1(VALU_DEP_4)
	v_fmac_f16_e32 v7, -0.5, v2
	v_sub_f16_e32 v2, v3, v5
	v_add_f16_e32 v5, v8, v5
	v_add_f16_e32 v4, v4, v6
	v_mad_u16 v6, v67, 27, v71
	s_delay_alu instid0(VALU_DEP_4) | instskip(SKIP_1) | instid1(VALU_DEP_4)
	v_fmamk_f16 v3, v2, 0xbaee, v7
	v_fmac_f16_e32 v7, 0x3aee, v2
	v_pack_b32_f16 v0, v5, v4
	s_delay_alu instid0(VALU_DEP_4) | instskip(NEXT) | instid1(VALU_DEP_4)
	v_and_b32_e32 v4, 0xffff, v6
	v_pack_b32_f16 v3, v9, v3
	s_delay_alu instid0(VALU_DEP_4) | instskip(NEXT) | instid1(VALU_DEP_3)
	v_pack_b32_f16 v2, v44, v7
	v_lshlrev_b32_e32 v4, 2, v4
	s_clause 0x2
	scratch_store_b32 off, v11, off offset:304
	scratch_store_b32 off, v10, off offset:312
	;; [unrolled: 1-line block ×3, first 2 shown]
	ds_store_2addr_b32 v4, v0, v3 offset1:9
	ds_store_b32 v4, v2 offset:72
	v_mul_u32_u24_e32 v0, 0x2f69, v58
	s_waitcnt lgkmcnt(0)
	s_waitcnt_vscnt null, 0x0
	s_barrier
	buffer_gl0_inv
	v_lshrrev_b32_e32 v0, 16, v0
	s_delay_alu instid0(VALU_DEP_1) | instskip(NEXT) | instid1(VALU_DEP_1)
	v_sub_nc_u16 v2, v85, v0
	v_lshrrev_b16 v2, 1, v2
	s_delay_alu instid0(VALU_DEP_1) | instskip(SKIP_1) | instid1(VALU_DEP_2)
	v_add_nc_u16 v0, v2, v0
	v_mul_u32_u24_e32 v2, 0x2f69, v77
	v_lshrrev_b16 v0, 4, v0
	s_delay_alu instid0(VALU_DEP_2) | instskip(NEXT) | instid1(VALU_DEP_2)
	v_lshrrev_b32_e32 v2, 16, v2
	v_mul_lo_u16 v11, v0, 27
	s_delay_alu instid0(VALU_DEP_2) | instskip(NEXT) | instid1(VALU_DEP_2)
	v_sub_nc_u16 v3, v84, v2
	v_sub_nc_u16 v11, v85, v11
	s_delay_alu instid0(VALU_DEP_2) | instskip(NEXT) | instid1(VALU_DEP_2)
	v_lshrrev_b16 v3, 1, v3
	v_mad_u16 v0, 0x51, v0, v11
	s_delay_alu instid0(VALU_DEP_2) | instskip(SKIP_1) | instid1(VALU_DEP_3)
	v_add_nc_u16 v2, v3, v2
	v_mul_u32_u24_e32 v3, 0x2f69, v76
	v_and_b32_e32 v0, 0xffff, v0
	s_delay_alu instid0(VALU_DEP_3) | instskip(NEXT) | instid1(VALU_DEP_3)
	v_lshrrev_b16 v2, 4, v2
	v_lshrrev_b32_e32 v3, 16, v3
	s_delay_alu instid0(VALU_DEP_3) | instskip(NEXT) | instid1(VALU_DEP_2)
	v_lshlrev_b32_e32 v0, 2, v0
	v_sub_nc_u16 v4, v98, v3
	s_delay_alu instid0(VALU_DEP_1) | instskip(NEXT) | instid1(VALU_DEP_1)
	v_lshrrev_b16 v4, 1, v4
	v_add_nc_u16 v3, v4, v3
	v_mul_u32_u24_e32 v4, 0x2f69, v79
	s_delay_alu instid0(VALU_DEP_2) | instskip(NEXT) | instid1(VALU_DEP_2)
	v_lshrrev_b16 v3, 4, v3
	v_lshrrev_b32_e32 v4, 16, v4
	s_delay_alu instid0(VALU_DEP_2) | instskip(NEXT) | instid1(VALU_DEP_2)
	v_mul_lo_u16 v12, v3, 27
	v_sub_nc_u16 v5, v115, v4
	s_delay_alu instid0(VALU_DEP_2) | instskip(NEXT) | instid1(VALU_DEP_2)
	v_sub_nc_u16 v12, v98, v12
	v_lshrrev_b16 v5, 1, v5
	s_delay_alu instid0(VALU_DEP_2) | instskip(NEXT) | instid1(VALU_DEP_2)
	v_lshlrev_b16 v14, 3, v12
	v_add_nc_u16 v4, v5, v4
	v_mul_u32_u24_e32 v5, 0x2f69, v78
	s_delay_alu instid0(VALU_DEP_3) | instskip(NEXT) | instid1(VALU_DEP_3)
	v_and_b32_e32 v14, 0xffff, v14
	v_lshrrev_b16 v4, 4, v4
	s_delay_alu instid0(VALU_DEP_3) | instskip(NEXT) | instid1(VALU_DEP_1)
	v_lshrrev_b32_e32 v5, 16, v5
	v_sub_nc_u16 v6, v113, v5
	s_delay_alu instid0(VALU_DEP_1) | instskip(NEXT) | instid1(VALU_DEP_1)
	v_lshrrev_b16 v6, 1, v6
	v_add_nc_u16 v5, v6, v5
	v_mul_u32_u24_e32 v6, 0x2f69, v101
	s_delay_alu instid0(VALU_DEP_2) | instskip(NEXT) | instid1(VALU_DEP_2)
	v_lshrrev_b16 v5, 4, v5
	v_lshrrev_b32_e32 v6, 16, v6
	s_delay_alu instid0(VALU_DEP_1) | instskip(NEXT) | instid1(VALU_DEP_1)
	v_sub_nc_u16 v7, v114, v6
	v_lshrrev_b16 v7, 1, v7
	s_delay_alu instid0(VALU_DEP_1) | instskip(SKIP_1) | instid1(VALU_DEP_2)
	v_add_nc_u16 v6, v7, v6
	v_mul_u32_u24_e32 v7, 0x2f69, v100
	v_lshrrev_b16 v6, 4, v6
	s_delay_alu instid0(VALU_DEP_2) | instskip(NEXT) | instid1(VALU_DEP_2)
	v_lshrrev_b32_e32 v7, 16, v7
	v_mul_lo_u16 v50, v6, 27
	s_delay_alu instid0(VALU_DEP_2) | instskip(NEXT) | instid1(VALU_DEP_1)
	v_sub_nc_u16 v8, v112, v7
	v_lshrrev_b16 v8, 1, v8
	s_delay_alu instid0(VALU_DEP_1) | instskip(SKIP_1) | instid1(VALU_DEP_2)
	v_add_nc_u16 v7, v8, v7
	v_mul_u32_u24_e32 v8, 0x2f69, v99
	v_lshrrev_b16 v7, 4, v7
	s_delay_alu instid0(VALU_DEP_2) | instskip(NEXT) | instid1(VALU_DEP_2)
	v_lshrrev_b32_e32 v8, 16, v8
	v_mul_lo_u16 v54, v7, 27
	s_delay_alu instid0(VALU_DEP_2) | instskip(NEXT) | instid1(VALU_DEP_2)
	v_sub_nc_u16 v9, v141, v8
	v_sub_nc_u16 v90, v112, v54
	s_delay_alu instid0(VALU_DEP_2) | instskip(NEXT) | instid1(VALU_DEP_1)
	v_lshrrev_b16 v9, 1, v9
	v_add_nc_u16 v8, v9, v8
	v_mul_lo_u16 v9, v59, 19
	s_delay_alu instid0(VALU_DEP_2) | instskip(NEXT) | instid1(VALU_DEP_2)
	v_lshrrev_b16 v8, 4, v8
	v_lshrrev_b16 v9, 9, v9
	s_delay_alu instid0(VALU_DEP_2) | instskip(NEXT) | instid1(VALU_DEP_2)
	v_mul_lo_u16 v54, v8, 27
	v_mul_lo_u16 v10, v9, 27
	v_and_b32_e32 v9, 0xffff, v9
	s_delay_alu instid0(VALU_DEP_3) | instskip(NEXT) | instid1(VALU_DEP_3)
	v_sub_nc_u16 v91, v141, v54
	v_sub_nc_u16 v10, v1, v10
	s_delay_alu instid0(VALU_DEP_3) | instskip(SKIP_1) | instid1(VALU_DEP_4)
	v_mul_u32_u24_e32 v9, 0x51, v9
	v_lshlrev_b16 v54, 3, v90
	v_lshlrev_b16 v55, 3, v91
	s_delay_alu instid0(VALU_DEP_4) | instskip(NEXT) | instid1(VALU_DEP_3)
	v_and_b32_e32 v10, 0xff, v10
	v_and_b32_e32 v54, 0xffff, v54
	s_delay_alu instid0(VALU_DEP_3) | instskip(NEXT) | instid1(VALU_DEP_3)
	v_and_b32_e32 v56, 0xffff, v55
	v_add_lshl_u32 v20, v9, v10, 2
	v_lshlrev_b16 v9, 3, v11
	v_lshlrev_b32_e32 v10, 3, v10
	s_delay_alu instid0(VALU_DEP_2) | instskip(NEXT) | instid1(VALU_DEP_1)
	v_and_b32_e32 v9, 0xffff, v9
	v_add_co_u32 v40, s2, s6, v9
	v_mul_lo_u16 v9, v2, 27
	v_add_co_ci_u32_e64 v41, null, s7, 0, s2
	s_delay_alu instid0(VALU_DEP_2) | instskip(NEXT) | instid1(VALU_DEP_1)
	v_sub_nc_u16 v9, v84, v9
	v_lshlrev_b16 v13, 3, v9
	s_delay_alu instid0(VALU_DEP_1) | instskip(NEXT) | instid1(VALU_DEP_1)
	v_and_b32_e32 v13, 0xffff, v13
	v_add_co_u32 v44, s2, s6, v13
	s_delay_alu instid0(VALU_DEP_1) | instskip(SKIP_1) | instid1(VALU_DEP_1)
	v_add_co_ci_u32_e64 v45, null, s7, 0, s2
	v_add_co_u32 v46, s2, s6, v14
	v_add_co_ci_u32_e64 v47, null, s7, 0, s2
	s_clause 0x3
	global_load_b64 v[42:43], v[40:41], off offset:96
	global_load_b64 v[44:45], v[44:45], off offset:96
	;; [unrolled: 1-line block ×3, first 2 shown]
	global_load_b64 v[40:41], v10, s[6:7] offset:96
	ds_load_2addr_b32 v[60:61], v188 offset0:8 offset1:251
	ds_load_2addr_b32 v[62:63], v187 offset0:6 offset1:249
	ds_load_2addr_b32 v[64:65], v122 offset1:243
	s_waitcnt lgkmcnt(2)
	v_lshrrev_b32_e32 v10, 16, v61
	s_waitcnt lgkmcnt(0)
	v_lshrrev_b32_e32 v16, 16, v64
	s_waitcnt vmcnt(3)
	v_lshrrev_b32_e32 v21, 16, v43
	v_lshrrev_b32_e32 v168, 16, v42
	s_waitcnt vmcnt(2)
	v_lshrrev_b32_e32 v162, 16, v44
	s_waitcnt vmcnt(0)
	v_lshrrev_b32_e32 v14, 16, v40
	v_lshrrev_b32_e32 v192, 16, v41
	;; [unrolled: 1-line block ×3, first 2 shown]
	s_delay_alu instid0(VALU_DEP_3) | instskip(SKIP_3) | instid1(VALU_DEP_4)
	v_mul_f16_e32 v13, v61, v14
	v_mov_b32_e32 v19, v14
	v_lshrrev_b32_e32 v14, 16, v62
	v_mul_f16_e64 v15, v62, v192
	v_fmac_f16_e32 v13, v10, v40
	s_delay_alu instid0(VALU_DEP_4) | instskip(NEXT) | instid1(VALU_DEP_3)
	v_mul_f16_e32 v10, v10, v19
	v_fmac_f16_e32 v15, v14, v41
	v_mul_f16_e64 v14, v14, v192
	s_delay_alu instid0(VALU_DEP_4) | instskip(NEXT) | instid1(VALU_DEP_4)
	v_add_f16_e32 v17, v16, v13
	v_fma_f16 v10, v61, v40, -v10
	s_delay_alu instid0(VALU_DEP_4) | instskip(NEXT) | instid1(VALU_DEP_4)
	v_sub_f16_e32 v18, v13, v15
	v_fma_f16 v14, v62, v41, -v14
	v_add_f16_e32 v13, v13, v15
	v_add_f16_e32 v15, v17, v15
	;; [unrolled: 1-line block ×3, first 2 shown]
	s_delay_alu instid0(VALU_DEP_4) | instskip(SKIP_2) | instid1(VALU_DEP_4)
	v_add_f16_e32 v19, v10, v14
	v_sub_f16_e32 v10, v10, v14
	v_fmac_f16_e32 v16, -0.5, v13
	v_add_f16_e32 v17, v17, v14
	s_delay_alu instid0(VALU_DEP_4) | instskip(SKIP_1) | instid1(VALU_DEP_3)
	v_fma_f16 v14, -0.5, v19, v64
	v_sub_nc_u16 v64, v114, v50
	v_pack_b32_f16 v13, v17, v15
	v_fmamk_f16 v17, v10, 0xbaee, v16
	s_delay_alu instid0(VALU_DEP_4) | instskip(NEXT) | instid1(VALU_DEP_4)
	v_fmamk_f16 v15, v18, 0x3aee, v14
	v_lshlrev_b16 v51, 3, v64
	v_fmac_f16_e32 v16, 0x3aee, v10
	v_fmac_f16_e32 v14, 0xbaee, v18
	s_delay_alu instid0(VALU_DEP_4) | instskip(SKIP_2) | instid1(VALU_DEP_4)
	v_pack_b32_f16 v15, v15, v17
	v_mul_lo_u16 v17, v4, 27
	v_and_b32_e32 v52, 0xffff, v51
	v_pack_b32_f16 v14, v14, v16
	s_delay_alu instid0(VALU_DEP_3) | instskip(NEXT) | instid1(VALU_DEP_1)
	v_sub_nc_u16 v17, v115, v17
	v_lshlrev_b16 v19, 3, v17
	s_delay_alu instid0(VALU_DEP_1) | instskip(NEXT) | instid1(VALU_DEP_1)
	v_and_b32_e32 v19, 0xffff, v19
	v_add_co_u32 v48, s2, s6, v19
	s_delay_alu instid0(VALU_DEP_1) | instskip(SKIP_3) | instid1(VALU_DEP_1)
	v_add_co_ci_u32_e64 v49, null, s7, 0, s2
	v_mul_lo_u16 v19, v5, 27
	global_load_b64 v[48:49], v[48:49], off offset:96
	v_sub_nc_u16 v19, v113, v19
	v_lshlrev_b16 v50, 3, v19
	s_delay_alu instid0(VALU_DEP_1) | instskip(NEXT) | instid1(VALU_DEP_1)
	v_and_b32_e32 v50, 0xffff, v50
	v_add_co_u32 v50, s2, s6, v50
	s_delay_alu instid0(VALU_DEP_1) | instskip(SKIP_1) | instid1(VALU_DEP_1)
	v_add_co_ci_u32_e64 v51, null, s7, 0, s2
	v_add_co_u32 v52, s2, s6, v52
	v_add_co_ci_u32_e64 v53, null, s7, 0, s2
	v_add_co_u32 v54, s2, s6, v54
	s_delay_alu instid0(VALU_DEP_1) | instskip(SKIP_1) | instid1(VALU_DEP_1)
	v_add_co_ci_u32_e64 v55, null, s7, 0, s2
	v_add_co_u32 v56, s2, s6, v56
	v_add_co_ci_u32_e64 v57, null, s7, 0, s2
	s_clause 0x3
	global_load_b64 v[50:51], v[50:51], off offset:96
	global_load_b64 v[52:53], v[52:53], off offset:96
	;; [unrolled: 1-line block ×4, first 2 shown]
	ds_load_b32 v92, v122 offset:25272
	ds_load_2addr_b32 v[61:62], v179 offset0:6 offset1:249
	ds_load_2addr_b32 v[66:67], v176 offset0:6 offset1:249
	;; [unrolled: 1-line block ×9, first 2 shown]
	ds_load_2addr_b32 v[88:89], v171 offset1:243
	s_waitcnt vmcnt(0) lgkmcnt(0)
	s_barrier
	buffer_gl0_inv
	ds_store_2addr_b32 v20, v13, v15 offset1:27
	v_lshrrev_b32_e32 v13, 16, v63
	ds_store_b32 v20, v14 offset:216
	scratch_store_b32 off, v20, off offset:316 ; 4-byte Folded Spill
	v_mov_b32_e32 v20, v0
	v_mul_f16_e32 v15, v13, v21
	v_lshrrev_b32_e32 v10, 16, v61
	scratch_store_b32 off, v20, off offset:320 ; 4-byte Folded Spill
	v_fma_f16 v15, v63, v43, -v15
	v_mul_f16_e32 v63, v63, v21
	v_lshrrev_b32_e32 v21, 16, v45
	s_delay_alu instid0(VALU_DEP_2) | instskip(SKIP_1) | instid1(VALU_DEP_1)
	v_fmac_f16_e32 v63, v13, v43
	v_mul_f16_e64 v13, v61, v168
	v_fmac_f16_e32 v13, v10, v42
	v_mul_f16_e64 v10, v10, v168
	s_delay_alu instid0(VALU_DEP_2) | instskip(NEXT) | instid1(VALU_DEP_2)
	v_add_f16_e32 v94, v13, v63
	v_fma_f16 v10, v61, v42, -v10
	v_lshrrev_b32_e32 v61, 16, v65
	s_delay_alu instid0(VALU_DEP_2) | instskip(SKIP_2) | instid1(VALU_DEP_3)
	v_add_f16_e32 v18, v10, v15
	v_add_f16_e32 v93, v65, v10
	v_sub_f16_e32 v10, v10, v15
	v_fmac_f16_e32 v65, -0.5, v18
	v_add_f16_e32 v18, v61, v13
	v_sub_f16_e32 v13, v13, v63
	v_fmac_f16_e32 v61, -0.5, v94
	v_add_f16_e32 v16, v93, v15
	s_delay_alu instid0(VALU_DEP_4) | instskip(NEXT) | instid1(VALU_DEP_4)
	v_add_f16_e32 v18, v18, v63
	v_fmamk_f16 v14, v13, 0x3aee, v65
	s_delay_alu instid0(VALU_DEP_4)
	v_fmamk_f16 v15, v10, 0xbaee, v61
	v_fmac_f16_e32 v65, 0xbaee, v13
	v_fmac_f16_e32 v61, 0x3aee, v10
	v_pack_b32_f16 v11, v16, v18
	v_lshrrev_b32_e32 v10, 16, v62
	v_pack_b32_f16 v14, v14, v15
	v_mul_f16_e64 v13, v62, v162
	v_lshrrev_b32_e32 v15, 16, v66
	ds_store_2addr_b32 v0, v11, v14 offset1:27
	v_mul_f16_e64 v11, v10, v162
	v_fmac_f16_e32 v13, v10, v44
	v_lshrrev_b32_e32 v10, 16, v68
	v_mul_f16_e32 v14, v68, v21
	v_pack_b32_f16 v0, v65, v61
	v_fma_f16 v11, v62, v44, -v11
	v_add_f16_e32 v16, v15, v13
	s_delay_alu instid0(VALU_DEP_4)
	v_fmac_f16_e32 v14, v10, v45
	v_mul_f16_e32 v10, v10, v21
	ds_store_b32 v20, v0 offset:216
	v_mad_u16 v0, 0x51, v2, v9
	v_add_f16_e32 v18, v13, v14
	v_fma_f16 v10, v68, v45, -v10
	v_sub_f16_e32 v13, v13, v14
	v_add_f16_e32 v14, v16, v14
	v_add_f16_e32 v16, v66, v11
	v_fmac_f16_e32 v15, -0.5, v18
	v_add_f16_e32 v18, v11, v10
	v_and_b32_e32 v0, 0xffff, v0
	s_delay_alu instid0(VALU_DEP_4) | instskip(SKIP_1) | instid1(VALU_DEP_4)
	v_add_f16_e32 v16, v16, v10
	v_sub_f16_e32 v10, v11, v10
	v_fma_f16 v9, -0.5, v18, v66
	s_delay_alu instid0(VALU_DEP_4) | instskip(NEXT) | instid1(VALU_DEP_4)
	v_lshlrev_b32_e32 v0, 2, v0
	v_pack_b32_f16 v2, v16, v14
	s_delay_alu instid0(VALU_DEP_4) | instskip(NEXT) | instid1(VALU_DEP_4)
	v_fmamk_f16 v14, v10, 0xbaee, v15
	v_fmamk_f16 v11, v13, 0x3aee, v9
	s_delay_alu instid0(VALU_DEP_4)
	v_mov_b32_e32 v20, v0
	v_fmac_f16_e32 v9, 0xbaee, v13
	v_lshrrev_b32_e32 v13, 16, v46
	v_fmac_f16_e32 v15, 0x3aee, v10
	v_pack_b32_f16 v11, v11, v14
	v_lshrrev_b32_e32 v14, 16, v67
	scratch_store_b32 off, v20, off offset:324 ; 4-byte Folded Spill
	v_mul_f16_e32 v10, v70, v13
	v_pack_b32_f16 v9, v9, v15
	ds_store_2addr_b32 v0, v2, v11 offset1:27
	v_lshrrev_b32_e32 v0, 16, v69
	v_mul_f16_e64 v11, v69, v160
	ds_store_b32 v20, v9 offset:216
	v_mul_f16_e64 v2, v0, v160
	v_fmac_f16_e32 v11, v0, v47
	v_lshrrev_b32_e32 v0, 16, v70
	s_delay_alu instid0(VALU_DEP_3) | instskip(NEXT) | instid1(VALU_DEP_2)
	v_fma_f16 v2, v69, v47, -v2
	v_fmac_f16_e32 v10, v0, v46
	v_mul_f16_e32 v0, v0, v13
	s_delay_alu instid0(VALU_DEP_2) | instskip(NEXT) | instid1(VALU_DEP_2)
	v_add_f16_e32 v18, v10, v11
	v_fma_f16 v0, v70, v46, -v0
	s_delay_alu instid0(VALU_DEP_1) | instskip(SKIP_2) | instid1(VALU_DEP_3)
	v_add_f16_e32 v13, v0, v2
	v_add_f16_e32 v16, v67, v0
	v_sub_f16_e32 v0, v0, v2
	v_fmac_f16_e32 v67, -0.5, v13
	v_add_f16_e32 v13, v14, v10
	v_sub_f16_e32 v10, v10, v11
	v_fmac_f16_e32 v14, -0.5, v18
	s_delay_alu instid0(VALU_DEP_3) | instskip(SKIP_4) | instid1(VALU_DEP_4)
	v_add_f16_e32 v11, v13, v11
	v_add_f16_e32 v13, v16, v2
	v_mad_u16 v2, 0x51, v3, v12
	v_fmamk_f16 v9, v10, 0x3aee, v67
	v_fmac_f16_e32 v67, 0xbaee, v10
	v_pack_b32_f16 v3, v13, v11
	v_fmamk_f16 v11, v0, 0xbaee, v14
	v_and_b32_e32 v2, 0xffff, v2
	v_fmac_f16_e32 v14, 0x3aee, v0
	s_delay_alu instid0(VALU_DEP_3) | instskip(NEXT) | instid1(VALU_DEP_3)
	v_pack_b32_f16 v9, v9, v11
	v_lshlrev_b32_e32 v2, 2, v2
	v_lshrrev_b32_e32 v11, 16, v72
	s_delay_alu instid0(VALU_DEP_4)
	v_pack_b32_f16 v0, v67, v14
	ds_store_2addr_b32 v2, v3, v9 offset1:27
	v_mov_b32_e32 v15, v2
	v_lshrrev_b32_e32 v2, 16, v71
	ds_store_b32 v15, v0 offset:216
	v_mad_u16 v0, 0x51, v4, v17
	scratch_store_b32 off, v15, off offset:328 ; 4-byte Folded Spill
	v_and_b32_e32 v0, 0xffff, v0
	s_delay_alu instid0(VALU_DEP_1) | instskip(NEXT) | instid1(VALU_DEP_1)
	v_lshlrev_b32_e32 v0, 2, v0
	v_mov_b32_e32 v15, v0
	v_lshrrev_b32_e32 v150, 16, v48
	v_lshrrev_b32_e32 v184, 16, v49
	s_delay_alu instid0(VALU_DEP_2) | instskip(SKIP_1) | instid1(VALU_DEP_3)
	v_mul_f16_e64 v9, v71, v150
	v_mul_f16_e64 v3, v2, v150
	;; [unrolled: 1-line block ×3, first 2 shown]
	s_delay_alu instid0(VALU_DEP_3) | instskip(SKIP_1) | instid1(VALU_DEP_4)
	v_fmac_f16_e32 v9, v2, v48
	v_lshrrev_b32_e32 v2, 16, v74
	v_fma_f16 v3, v71, v48, -v3
	s_delay_alu instid0(VALU_DEP_3) | instskip(NEXT) | instid1(VALU_DEP_3)
	v_add_f16_e32 v12, v11, v9
	v_fmac_f16_e32 v10, v2, v49
	v_mul_f16_e64 v2, v2, v184
	s_delay_alu instid0(VALU_DEP_2) | instskip(NEXT) | instid1(VALU_DEP_2)
	v_add_f16_e32 v13, v9, v10
	v_fma_f16 v2, v74, v49, -v2
	v_sub_f16_e32 v9, v9, v10
	v_add_f16_e32 v10, v12, v10
	v_add_f16_e32 v12, v72, v3
	v_fmac_f16_e32 v11, -0.5, v13
	v_add_f16_e32 v13, v3, v2
	s_delay_alu instid0(VALU_DEP_3) | instskip(SKIP_1) | instid1(VALU_DEP_3)
	v_add_f16_e32 v12, v12, v2
	v_sub_f16_e32 v2, v3, v2
	v_fma_f16 v4, -0.5, v13, v72
	v_lshrrev_b32_e32 v190, 16, v51
	v_lshrrev_b32_e32 v172, 16, v50
	v_pack_b32_f16 v3, v12, v10
	v_fmamk_f16 v12, v2, 0xbaee, v11
	v_fmamk_f16 v10, v9, 0x3aee, v4
	v_fmac_f16_e32 v11, 0x3aee, v2
	v_mul_f16_e64 v2, v80, v172
	v_fmac_f16_e32 v4, 0xbaee, v9
	v_lshrrev_b32_e32 v198, 16, v52
	v_pack_b32_f16 v10, v10, v12
	v_lshrrev_b32_e32 v12, 16, v73
	v_lshrrev_b32_e32 v199, 16, v53
	v_pack_b32_f16 v4, v4, v11
	v_lshrrev_b32_e32 v200, 16, v55
	ds_store_2addr_b32 v0, v3, v10 offset1:27
	v_lshrrev_b32_e32 v0, 16, v75
	v_mul_f16_e64 v10, v75, v190
	ds_store_b32 v15, v4 offset:216
	v_lshrrev_b32_e32 v201, 16, v54
	v_lshrrev_b32_e32 v204, 16, v56
	v_mul_f16_e64 v3, v0, v190
	v_fmac_f16_e32 v10, v0, v51
	v_lshrrev_b32_e32 v0, 16, v80
	v_lshrrev_b32_e32 v203, 16, v57
	s_delay_alu instid0(VALU_DEP_4) | instskip(NEXT) | instid1(VALU_DEP_3)
	v_fma_f16 v3, v75, v51, -v3
	v_fmac_f16_e32 v2, v0, v50
	v_mul_f16_e64 v0, v0, v172
	s_delay_alu instid0(VALU_DEP_2) | instskip(NEXT) | instid1(VALU_DEP_2)
	v_add_f16_e32 v14, v2, v10
	v_fma_f16 v0, v80, v50, -v0
	s_delay_alu instid0(VALU_DEP_1) | instskip(SKIP_2) | instid1(VALU_DEP_3)
	v_add_f16_e32 v9, v0, v3
	v_add_f16_e32 v13, v73, v0
	v_sub_f16_e32 v0, v0, v3
	v_fmac_f16_e32 v73, -0.5, v9
	v_add_f16_e32 v9, v12, v2
	v_sub_f16_e32 v2, v2, v10
	v_fmac_f16_e32 v12, -0.5, v14
	s_delay_alu instid0(VALU_DEP_3)
	v_add_f16_e32 v9, v9, v10
	v_add_f16_e32 v10, v13, v3
	v_mad_u16 v3, 0x51, v5, v19
	v_fmamk_f16 v5, v2, 0x3aee, v73
	v_fmac_f16_e32 v73, 0xbaee, v2
	v_lshrrev_b32_e32 v2, 16, v81
	v_pack_b32_f16 v4, v10, v9
	v_fmamk_f16 v9, v0, 0xbaee, v12
	v_and_b32_e32 v3, 0xffff, v3
	v_fmac_f16_e32 v12, 0x3aee, v0
	s_delay_alu instid0(VALU_DEP_3) | instskip(NEXT) | instid1(VALU_DEP_3)
	v_pack_b32_f16 v5, v5, v9
	v_lshlrev_b32_e32 v3, 2, v3
	v_lshrrev_b32_e32 v9, 16, v82
	s_delay_alu instid0(VALU_DEP_4)
	v_pack_b32_f16 v0, v73, v12
	ds_store_2addr_b32 v3, v4, v5 offset1:27
	v_mul_f16_e64 v4, v81, v198
	v_mov_b32_e32 v13, v3
	v_mul_f16_e64 v3, v2, v198
	v_mul_f16_e64 v5, v86, v199
	scratch_store_b32 off, v15, off offset:332 ; 4-byte Folded Spill
	v_fmac_f16_e32 v4, v2, v52
	scratch_store_b32 off, v13, off offset:336 ; 4-byte Folded Spill
	v_lshrrev_b32_e32 v2, 16, v86
	v_fma_f16 v3, v81, v52, -v3
	ds_store_b32 v13, v0 offset:216
	v_add_f16_e32 v10, v9, v4
	v_mad_u16 v0, 0x51, v6, v64
	v_fmac_f16_e32 v5, v2, v53
	v_mul_f16_e64 v2, v2, v199
	v_mul_u32_u24_e32 v15, 0x6523, v101
	s_delay_alu instid0(VALU_DEP_4) | instskip(NEXT) | instid1(VALU_DEP_4)
	v_and_b32_e32 v0, 0xffff, v0
	v_add_f16_e32 v11, v4, v5
	v_sub_f16_e32 v4, v4, v5
	v_add_f16_e32 v5, v10, v5
	v_fma_f16 v2, v86, v53, -v2
	v_add_f16_e32 v10, v82, v3
	v_fmac_f16_e32 v9, -0.5, v11
	v_lshlrev_b32_e32 v0, 2, v0
	v_lshrrev_b32_e32 v15, 21, v15
	v_add_f16_e32 v11, v3, v2
	v_add_f16_e32 v10, v10, v2
	v_sub_f16_e32 v2, v3, v2
	v_mov_b32_e32 v13, v0
	v_mul_lo_u16 v17, 0x51, v15
	s_delay_alu instid0(VALU_DEP_4)
	v_pack_b32_f16 v3, v10, v5
	v_fma_f16 v5, -0.5, v11, v82
	v_fmamk_f16 v10, v2, 0xbaee, v9
	v_fmac_f16_e32 v9, 0x3aee, v2
	v_mul_f16_e64 v2, v88, v201
	v_sub_nc_u16 v17, v114, v17
	v_fmamk_f16 v6, v4, 0x3aee, v5
	v_fmac_f16_e32 v5, 0xbaee, v4
	s_delay_alu instid0(VALU_DEP_3) | instskip(NEXT) | instid1(VALU_DEP_3)
	v_lshlrev_b16 v19, 3, v17
	v_pack_b32_f16 v6, v6, v10
	v_lshrrev_b32_e32 v10, 16, v83
	s_delay_alu instid0(VALU_DEP_4) | instskip(NEXT) | instid1(VALU_DEP_4)
	v_pack_b32_f16 v5, v5, v9
	v_and_b32_e32 v19, 0xffff, v19
	ds_store_2addr_b32 v0, v3, v6 offset1:27
	v_lshrrev_b32_e32 v0, 16, v87
	v_mul_f16_e64 v6, v87, v200
	ds_store_b32 v13, v5 offset:216
	v_mul_f16_e64 v3, v0, v200
	v_fmac_f16_e32 v6, v0, v55
	v_lshrrev_b32_e32 v0, 16, v88
	s_delay_alu instid0(VALU_DEP_3) | instskip(NEXT) | instid1(VALU_DEP_2)
	v_fma_f16 v3, v87, v55, -v3
	v_fmac_f16_e32 v2, v0, v54
	v_mul_f16_e64 v0, v0, v201
	s_delay_alu instid0(VALU_DEP_2) | instskip(NEXT) | instid1(VALU_DEP_2)
	v_add_f16_e32 v12, v2, v6
	v_fma_f16 v0, v88, v54, -v0
	s_delay_alu instid0(VALU_DEP_1) | instskip(SKIP_2) | instid1(VALU_DEP_3)
	v_add_f16_e32 v4, v0, v3
	v_add_f16_e32 v11, v83, v0
	v_sub_f16_e32 v0, v0, v3
	v_fmac_f16_e32 v83, -0.5, v4
	v_add_f16_e32 v4, v10, v2
	v_sub_f16_e32 v2, v2, v6
	v_fmac_f16_e32 v10, -0.5, v12
	s_delay_alu instid0(VALU_DEP_3)
	v_add_f16_e32 v4, v4, v6
	v_add_f16_e32 v6, v11, v3
	v_mad_u16 v3, 0x51, v7, v90
	v_fmamk_f16 v5, v2, 0x3aee, v83
	v_fmac_f16_e32 v83, 0xbaee, v2
	v_lshrrev_b32_e32 v2, 16, v89
	v_pack_b32_f16 v4, v6, v4
	v_fmamk_f16 v6, v0, 0xbaee, v10
	v_and_b32_e32 v3, 0xffff, v3
	v_fmac_f16_e32 v10, 0x3aee, v0
	v_lshrrev_b32_e32 v7, 16, v60
	s_delay_alu instid0(VALU_DEP_4) | instskip(NEXT) | instid1(VALU_DEP_4)
	v_pack_b32_f16 v5, v5, v6
	v_lshlrev_b32_e32 v3, 2, v3
	v_mul_f16_e64 v6, v92, v203
	v_pack_b32_f16 v0, v83, v10
	ds_store_2addr_b32 v3, v4, v5 offset1:27
	v_mul_f16_e64 v4, v89, v204
	v_mov_b32_e32 v11, v3
	v_mul_f16_e64 v3, v2, v204
	scratch_store_b32 off, v13, off offset:340 ; 4-byte Folded Spill
	v_fmac_f16_e32 v4, v2, v56
	v_lshrrev_b32_e32 v2, 16, v92
	v_fma_f16 v3, v89, v56, -v3
	ds_store_b32 v11, v0 offset:216
	v_mul_f16_e64 v5, v2, v203
	v_fmac_f16_e32 v6, v2, v57
	v_add_f16_e32 v9, v60, v3
	s_delay_alu instid0(VALU_DEP_3) | instskip(NEXT) | instid1(VALU_DEP_1)
	v_fma_f16 v5, v92, v57, -v5
	v_add_f16_e32 v2, v3, v5
	s_delay_alu instid0(VALU_DEP_1) | instskip(SKIP_1) | instid1(VALU_DEP_1)
	v_fmac_f16_e32 v60, -0.5, v2
	v_sub_f16_e32 v2, v4, v6
	v_fmamk_f16 v10, v2, 0x3aee, v60
	v_fmac_f16_e32 v60, 0xbaee, v2
	v_add_f16_e32 v2, v4, v6
	v_add_f16_e32 v4, v7, v4
	s_delay_alu instid0(VALU_DEP_2) | instskip(SKIP_2) | instid1(VALU_DEP_4)
	v_fmac_f16_e32 v7, -0.5, v2
	v_sub_f16_e32 v2, v3, v5
	v_add_f16_e32 v5, v9, v5
	v_add_f16_e32 v4, v4, v6
	v_mad_u16 v6, 0x51, v8, v91
	s_delay_alu instid0(VALU_DEP_4) | instskip(SKIP_1) | instid1(VALU_DEP_4)
	v_fmamk_f16 v3, v2, 0xbaee, v7
	v_fmac_f16_e32 v7, 0x3aee, v2
	v_pack_b32_f16 v0, v5, v4
	s_delay_alu instid0(VALU_DEP_4) | instskip(SKIP_3) | instid1(VALU_DEP_4)
	v_and_b32_e32 v4, 0xffff, v6
	v_mul_u32_u24_e32 v5, 0x6523, v76
	v_pack_b32_f16 v3, v10, v3
	v_pack_b32_f16 v2, v60, v7
	v_lshlrev_b32_e32 v4, 2, v4
	scratch_store_b32 off, v11, off offset:344 ; 4-byte Folded Spill
	v_lshrrev_b32_e32 v5, 21, v5
	ds_store_2addr_b32 v4, v0, v3 offset1:27
	v_mul_lo_u16 v0, 0xcb, v59
	ds_store_b32 v4, v2 offset:216
	v_mul_u32_u24_e32 v2, 0x6523, v58
	v_mul_lo_u16 v7, 0x51, v5
	v_lshrrev_b16 v0, 14, v0
	s_delay_alu instid0(VALU_DEP_3) | instskip(NEXT) | instid1(VALU_DEP_3)
	v_lshrrev_b32_e32 v2, 21, v2
	v_sub_nc_u16 v7, v98, v7
	s_delay_alu instid0(VALU_DEP_3) | instskip(SKIP_1) | instid1(VALU_DEP_3)
	v_mul_lo_u16 v3, 0x51, v0
	v_and_b32_e32 v0, 0xffff, v0
	v_lshlrev_b16 v9, 3, v7
	s_delay_alu instid0(VALU_DEP_3) | instskip(SKIP_1) | instid1(VALU_DEP_4)
	v_sub_nc_u16 v1, v1, v3
	v_mul_lo_u16 v3, 0x51, v2
	v_mul_u32_u24_e32 v0, 0xf3, v0
	s_delay_alu instid0(VALU_DEP_4) | instskip(NEXT) | instid1(VALU_DEP_4)
	v_and_b32_e32 v9, 0xffff, v9
	v_and_b32_e32 v1, 0xff, v1
	s_delay_alu instid0(VALU_DEP_4) | instskip(NEXT) | instid1(VALU_DEP_2)
	v_sub_nc_u16 v3, v85, v3
	v_add_lshl_u32 v20, v0, v1, 2
	scratch_store_b32 off, v4, off offset:348 ; 4-byte Folded Spill
	v_lshlrev_b16 v4, 3, v3
	s_waitcnt lgkmcnt(0)
	s_waitcnt_vscnt null, 0x0
	s_barrier
	buffer_gl0_inv
	v_and_b32_e32 v4, 0xffff, v4
	s_delay_alu instid0(VALU_DEP_1) | instskip(SKIP_2) | instid1(VALU_DEP_2)
	v_add_co_u32 v58, s2, s6, v4
	v_mul_u32_u24_e32 v4, 0x6523, v77
	v_add_co_ci_u32_e64 v59, null, s7, 0, s2
	v_lshrrev_b32_e32 v4, 21, v4
	s_delay_alu instid0(VALU_DEP_1) | instskip(NEXT) | instid1(VALU_DEP_1)
	v_mul_lo_u16 v6, 0x51, v4
	v_sub_nc_u16 v6, v84, v6
	s_delay_alu instid0(VALU_DEP_1) | instskip(NEXT) | instid1(VALU_DEP_1)
	v_lshlrev_b16 v8, 3, v6
	v_and_b32_e32 v8, 0xffff, v8
	s_delay_alu instid0(VALU_DEP_1) | instskip(NEXT) | instid1(VALU_DEP_1)
	v_add_co_u32 v62, s2, s6, v8
	v_add_co_ci_u32_e64 v63, null, s7, 0, s2
	v_add_co_u32 v64, s2, s6, v9
	v_lshlrev_b32_e32 v8, 3, v1
	v_add_co_ci_u32_e64 v65, null, s7, 0, s2
	s_clause 0x3
	global_load_b64 v[60:61], v[58:59], off offset:312
	global_load_b64 v[62:63], v[62:63], off offset:312
	;; [unrolled: 1-line block ×3, first 2 shown]
	global_load_b64 v[58:59], v8, s[6:7] offset:312
	ds_load_2addr_b32 v[80:81], v188 offset0:8 offset1:251
	ds_load_2addr_b32 v[82:83], v187 offset0:6 offset1:249
	ds_load_2addr_b32 v[86:87], v122 offset1:243
	s_waitcnt lgkmcnt(2)
	v_lshrrev_b32_e32 v8, 16, v81
	s_waitcnt lgkmcnt(1)
	v_lshrrev_b32_e32 v10, 16, v82
	;; [unrolled: 2-line block ×3, first 2 shown]
	s_waitcnt vmcnt(3)
	v_lshrrev_b32_e32 v202, 16, v61
	v_lshrrev_b32_e32 v169, 16, v60
	s_waitcnt vmcnt(2)
	v_lshrrev_b32_e32 v205, 16, v62
	s_waitcnt vmcnt(0)
	v_lshrrev_b32_e32 v173, 16, v58
	v_lshrrev_b32_e32 v195, 16, v59
	;; [unrolled: 1-line block ×5, first 2 shown]
	v_mul_f16_e64 v9, v81, v173
	v_mul_f16_e64 v11, v82, v195
	s_delay_alu instid0(VALU_DEP_2) | instskip(NEXT) | instid1(VALU_DEP_2)
	v_fmac_f16_e32 v9, v8, v58
	v_fmac_f16_e32 v11, v10, v59
	v_mul_f16_e64 v8, v8, v173
	v_mul_f16_e64 v10, v10, v195
	s_delay_alu instid0(VALU_DEP_4) | instskip(NEXT) | instid1(VALU_DEP_4)
	v_add_f16_e32 v13, v12, v9
	v_add_f16_e32 v14, v9, v11
	s_delay_alu instid0(VALU_DEP_4) | instskip(NEXT) | instid1(VALU_DEP_4)
	v_fma_f16 v8, v81, v58, -v8
	v_fma_f16 v10, v82, v59, -v10
	v_sub_f16_e32 v9, v9, v11
	v_add_f16_e32 v11, v13, v11
	v_fmac_f16_e32 v12, -0.5, v14
	v_add_f16_e32 v13, v86, v8
	v_add_f16_e32 v14, v8, v10
	v_sub_f16_e32 v8, v8, v10
	s_delay_alu instid0(VALU_DEP_3) | instskip(NEXT) | instid1(VALU_DEP_3)
	v_add_f16_e32 v13, v13, v10
	v_fma_f16 v1, -0.5, v14, v86
	s_delay_alu instid0(VALU_DEP_2) | instskip(NEXT) | instid1(VALU_DEP_2)
	v_pack_b32_f16 v0, v13, v11
	v_fmamk_f16 v10, v9, 0x3aee, v1
	v_fmamk_f16 v11, v8, 0xbaee, v12
	v_fmac_f16_e32 v12, 0x3aee, v8
	v_fmac_f16_e32 v1, 0xbaee, v9
	s_delay_alu instid0(VALU_DEP_3) | instskip(SKIP_1) | instid1(VALU_DEP_3)
	v_pack_b32_f16 v10, v10, v11
	v_mul_u32_u24_e32 v11, 0x6523, v79
	v_pack_b32_f16 v1, v1, v12
	s_delay_alu instid0(VALU_DEP_2) | instskip(NEXT) | instid1(VALU_DEP_1)
	v_lshrrev_b32_e32 v11, 21, v11
	v_mul_lo_u16 v13, 0x51, v11
	s_delay_alu instid0(VALU_DEP_1) | instskip(NEXT) | instid1(VALU_DEP_1)
	v_sub_nc_u16 v13, v115, v13
	v_lshlrev_b16 v14, 3, v13
	s_delay_alu instid0(VALU_DEP_1) | instskip(NEXT) | instid1(VALU_DEP_1)
	v_and_b32_e32 v14, 0xffff, v14
	v_add_co_u32 v66, s2, s6, v14
	v_mul_u32_u24_e32 v14, 0x6523, v78
	v_add_co_ci_u32_e64 v67, null, s7, 0, s2
	s_delay_alu instid0(VALU_DEP_2) | instskip(SKIP_2) | instid1(VALU_DEP_1)
	v_lshrrev_b32_e32 v14, 21, v14
	global_load_b64 v[66:67], v[66:67], off offset:312
	v_mul_lo_u16 v16, 0x51, v14
	v_sub_nc_u16 v16, v113, v16
	s_delay_alu instid0(VALU_DEP_1) | instskip(NEXT) | instid1(VALU_DEP_1)
	v_lshlrev_b16 v18, 3, v16
	v_and_b32_e32 v18, 0xffff, v18
	s_delay_alu instid0(VALU_DEP_1) | instskip(SKIP_3) | instid1(VALU_DEP_3)
	v_add_co_u32 v68, s2, s6, v18
	v_mul_u32_u24_e32 v18, 0x6523, v100
	v_add_co_ci_u32_e64 v69, null, s7, 0, s2
	v_add_co_u32 v70, s2, s6, v19
	v_lshrrev_b32_e32 v18, 21, v18
	v_mul_u32_u24_e32 v19, 0x6523, v99
	v_add_co_ci_u32_e64 v71, null, s7, 0, s2
	s_delay_alu instid0(VALU_DEP_3) | instskip(NEXT) | instid1(VALU_DEP_3)
	v_mul_lo_u16 v72, 0x51, v18
	v_lshrrev_b32_e32 v19, 21, v19
	s_delay_alu instid0(VALU_DEP_2) | instskip(NEXT) | instid1(VALU_DEP_2)
	v_sub_nc_u16 v86, v112, v72
	v_mul_lo_u16 v72, 0x51, v19
	s_delay_alu instid0(VALU_DEP_1) | instskip(NEXT) | instid1(VALU_DEP_3)
	v_sub_nc_u16 v110, v141, v72
	v_lshlrev_b16 v72, 3, v86
	s_delay_alu instid0(VALU_DEP_2) | instskip(NEXT) | instid1(VALU_DEP_2)
	v_lshlrev_b16 v73, 3, v110
	v_and_b32_e32 v72, 0xffff, v72
	s_delay_alu instid0(VALU_DEP_2) | instskip(NEXT) | instid1(VALU_DEP_2)
	v_and_b32_e32 v74, 0xffff, v73
	v_add_co_u32 v72, s2, s6, v72
	s_delay_alu instid0(VALU_DEP_1) | instskip(NEXT) | instid1(VALU_DEP_3)
	v_add_co_ci_u32_e64 v73, null, s7, 0, s2
	v_add_co_u32 v74, s2, s6, v74
	s_delay_alu instid0(VALU_DEP_1)
	v_add_co_ci_u32_e64 v75, null, s7, 0, s2
	s_clause 0x3
	global_load_b64 v[68:69], v[68:69], off offset:312
	global_load_b64 v[70:71], v[70:71], off offset:312
	;; [unrolled: 1-line block ×4, first 2 shown]
	ds_load_b32 v111, v122 offset:25272
	ds_load_2addr_b32 v[81:82], v179 offset0:6 offset1:249
	ds_load_2addr_b32 v[88:89], v176 offset0:6 offset1:249
	;; [unrolled: 1-line block ×9, first 2 shown]
	ds_load_2addr_b32 v[108:109], v171 offset1:243
	s_waitcnt vmcnt(0) lgkmcnt(0)
	s_barrier
	buffer_gl0_inv
	ds_store_2addr_b32 v20, v0, v10 offset1:81
	v_lshrrev_b32_e32 v0, 16, v83
	ds_store_b32 v20, v1 offset:648
	v_mad_u16 v1, 0xf3, v2, v3
	scratch_store_b32 off, v20, off offset:352 ; 4-byte Folded Spill
	v_mul_f16_e64 v10, v0, v202
	v_mul_f16_e64 v8, v81, v169
	v_and_b32_e32 v1, 0xffff, v1
	s_delay_alu instid0(VALU_DEP_3) | instskip(SKIP_1) | instid1(VALU_DEP_3)
	v_fma_f16 v10, v83, v61, -v10
	v_mul_f16_e64 v83, v83, v202
	v_lshlrev_b32_e32 v158, 2, v1
	v_lshrrev_b32_e32 v1, 16, v82
	s_delay_alu instid0(VALU_DEP_3) | instskip(SKIP_1) | instid1(VALU_DEP_1)
	v_fmac_f16_e32 v83, v0, v61
	v_lshrrev_b32_e32 v0, 16, v81
	v_fmac_f16_e32 v8, v0, v60
	v_mul_f16_e64 v0, v0, v169
	s_delay_alu instid0(VALU_DEP_2) | instskip(NEXT) | instid1(VALU_DEP_2)
	v_add_f16_e32 v117, v8, v83
	v_fma_f16 v0, v81, v60, -v0
	v_lshrrev_b32_e32 v81, 16, v87
	s_delay_alu instid0(VALU_DEP_2) | instskip(SKIP_2) | instid1(VALU_DEP_3)
	v_add_f16_e32 v9, v0, v10
	v_add_f16_e32 v116, v87, v0
	v_sub_f16_e32 v0, v0, v10
	v_fmac_f16_e32 v87, -0.5, v9
	v_add_f16_e32 v9, v81, v8
	v_sub_f16_e32 v8, v8, v83
	v_fmac_f16_e32 v81, -0.5, v117
	v_add_f16_e32 v12, v116, v10
	s_delay_alu instid0(VALU_DEP_4) | instskip(NEXT) | instid1(VALU_DEP_4)
	v_add_f16_e32 v9, v9, v83
	v_fmamk_f16 v3, v8, 0x3aee, v87
	v_fmac_f16_e32 v87, 0xbaee, v8
	v_mul_f16_e64 v8, v90, v206
	s_delay_alu instid0(VALU_DEP_4) | instskip(SKIP_2) | instid1(VALU_DEP_2)
	v_pack_b32_f16 v2, v12, v9
	v_fmamk_f16 v9, v0, 0xbaee, v81
	v_fmac_f16_e32 v81, 0x3aee, v0
	v_pack_b32_f16 v3, v3, v9
	v_lshrrev_b32_e32 v9, 16, v88
	s_delay_alu instid0(VALU_DEP_3)
	v_pack_b32_f16 v0, v87, v81
	ds_store_2addr_b32 v158, v2, v3 offset1:81
	v_mul_f16_e64 v3, v82, v205
	v_mul_f16_e64 v2, v1, v205
	ds_store_b32 v158, v0 offset:648
	v_mad_u16 v0, 0xf3, v4, v6
	v_fmac_f16_e32 v3, v1, v62
	v_lshrrev_b32_e32 v1, 16, v90
	v_fma_f16 v2, v82, v62, -v2
	s_delay_alu instid0(VALU_DEP_4) | instskip(NEXT) | instid1(VALU_DEP_4)
	v_and_b32_e32 v0, 0xffff, v0
	v_add_f16_e32 v10, v9, v3
	s_delay_alu instid0(VALU_DEP_4) | instskip(SKIP_1) | instid1(VALU_DEP_4)
	v_fmac_f16_e32 v8, v1, v63
	v_mul_f16_e64 v1, v1, v206
	v_lshlrev_b32_e32 v175, 2, v0
	v_lshrrev_b32_e32 v0, 16, v91
	s_delay_alu instid0(VALU_DEP_4) | instskip(NEXT) | instid1(VALU_DEP_4)
	v_add_f16_e32 v12, v3, v8
	v_fma_f16 v1, v90, v63, -v1
	v_sub_f16_e32 v3, v3, v8
	v_add_f16_e32 v8, v10, v8
	v_add_f16_e32 v10, v88, v2
	v_fmac_f16_e32 v9, -0.5, v12
	v_add_f16_e32 v12, v2, v1
	s_delay_alu instid0(VALU_DEP_3) | instskip(SKIP_1) | instid1(VALU_DEP_3)
	v_add_f16_e32 v10, v10, v1
	v_sub_f16_e32 v1, v2, v1
	v_fma_f16 v4, -0.5, v12, v88
	s_delay_alu instid0(VALU_DEP_3) | instskip(NEXT) | instid1(VALU_DEP_3)
	v_pack_b32_f16 v2, v10, v8
	v_fmamk_f16 v8, v1, 0xbaee, v9
	s_delay_alu instid0(VALU_DEP_3) | instskip(SKIP_3) | instid1(VALU_DEP_4)
	v_fmamk_f16 v6, v3, 0x3aee, v4
	v_fmac_f16_e32 v9, 0x3aee, v1
	v_mul_f16_e64 v1, v92, v208
	v_fmac_f16_e32 v4, 0xbaee, v3
	v_pack_b32_f16 v6, v6, v8
	v_lshrrev_b32_e32 v8, 16, v89
	s_delay_alu instid0(VALU_DEP_3)
	v_pack_b32_f16 v4, v4, v9
	ds_store_2addr_b32 v175, v2, v6 offset1:81
	v_mul_f16_e64 v6, v91, v207
	v_mul_f16_e64 v2, v0, v207
	ds_store_b32 v175, v4 offset:648
	v_fmac_f16_e32 v6, v0, v65
	v_lshrrev_b32_e32 v0, 16, v92
	v_fma_f16 v2, v91, v65, -v2
	s_delay_alu instid0(VALU_DEP_2) | instskip(SKIP_1) | instid1(VALU_DEP_2)
	v_fmac_f16_e32 v1, v0, v64
	v_mul_f16_e64 v0, v0, v208
	v_add_f16_e32 v12, v1, v6
	s_delay_alu instid0(VALU_DEP_2) | instskip(NEXT) | instid1(VALU_DEP_1)
	v_fma_f16 v0, v92, v64, -v0
	v_add_f16_e32 v3, v0, v2
	v_add_f16_e32 v10, v89, v0
	v_sub_f16_e32 v0, v0, v2
	s_delay_alu instid0(VALU_DEP_3) | instskip(SKIP_3) | instid1(VALU_DEP_3)
	v_fmac_f16_e32 v89, -0.5, v3
	v_add_f16_e32 v3, v8, v1
	v_sub_f16_e32 v1, v1, v6
	v_fmac_f16_e32 v8, -0.5, v12
	v_add_f16_e32 v3, v3, v6
	v_add_f16_e32 v6, v10, v2
	v_mad_u16 v2, 0xf3, v5, v7
	v_fmamk_f16 v4, v1, 0x3aee, v89
	v_fmamk_f16 v5, v0, 0xbaee, v8
	v_fmac_f16_e32 v89, 0xbaee, v1
	v_pack_b32_f16 v3, v6, v3
	v_and_b32_e32 v2, 0xffff, v2
	v_lshrrev_b32_e32 v1, 16, v93
	v_pack_b32_f16 v4, v4, v5
	v_lshrrev_b32_e32 v5, 16, v94
	v_fmac_f16_e32 v8, 0x3aee, v0
	v_lshlrev_b32_e32 v148, 2, v2
	s_delay_alu instid0(VALU_DEP_2) | instskip(SKIP_3) | instid1(VALU_DEP_1)
	v_pack_b32_f16 v0, v89, v8
	ds_store_2addr_b32 v148, v3, v4 offset1:81
	ds_store_b32 v148, v0 offset:648
	v_mad_u16 v0, 0xf3, v11, v13
	v_and_b32_e32 v0, 0xffff, v0
	s_delay_alu instid0(VALU_DEP_1) | instskip(SKIP_3) | instid1(VALU_DEP_2)
	v_lshlrev_b32_e32 v185, 2, v0
	v_lshrrev_b32_e32 v0, 16, v97
	v_lshrrev_b32_e32 v209, 16, v66
	;; [unrolled: 1-line block ×3, first 2 shown]
	v_mul_f16_e64 v3, v93, v209
	v_mul_f16_e64 v2, v1, v209
	s_delay_alu instid0(VALU_DEP_3) | instskip(NEXT) | instid1(VALU_DEP_3)
	v_mul_f16_e64 v4, v96, v151
	v_fmac_f16_e32 v3, v1, v66
	v_lshrrev_b32_e32 v1, 16, v96
	s_delay_alu instid0(VALU_DEP_4) | instskip(NEXT) | instid1(VALU_DEP_3)
	v_fma_f16 v2, v93, v66, -v2
	v_add_f16_e32 v6, v5, v3
	s_delay_alu instid0(VALU_DEP_3) | instskip(SKIP_1) | instid1(VALU_DEP_2)
	v_fmac_f16_e32 v4, v1, v67
	v_mul_f16_e64 v1, v1, v151
	v_add_f16_e32 v7, v3, v4
	v_sub_f16_e32 v3, v3, v4
	v_add_f16_e32 v4, v6, v4
	s_delay_alu instid0(VALU_DEP_4) | instskip(SKIP_2) | instid1(VALU_DEP_3)
	v_fma_f16 v1, v96, v67, -v1
	v_add_f16_e32 v6, v94, v2
	v_fmac_f16_e32 v5, -0.5, v7
	v_add_f16_e32 v7, v2, v1
	s_delay_alu instid0(VALU_DEP_3) | instskip(SKIP_1) | instid1(VALU_DEP_2)
	v_add_f16_e32 v6, v6, v1
	v_sub_f16_e32 v1, v2, v1
	v_pack_b32_f16 v2, v6, v4
	s_delay_alu instid0(VALU_DEP_4) | instskip(NEXT) | instid1(VALU_DEP_3)
	v_fma_f16 v4, -0.5, v7, v94
	v_fmamk_f16 v7, v1, 0xbaee, v5
	v_fmac_f16_e32 v5, 0x3aee, v1
	s_delay_alu instid0(VALU_DEP_3) | instskip(SKIP_1) | instid1(VALU_DEP_2)
	v_fmamk_f16 v6, v3, 0x3aee, v4
	v_fmac_f16_e32 v4, 0xbaee, v3
	v_pack_b32_f16 v6, v6, v7
	v_lshrrev_b32_e32 v7, 16, v95
	s_delay_alu instid0(VALU_DEP_3)
	v_pack_b32_f16 v4, v4, v5
	ds_store_2addr_b32 v185, v2, v6 offset1:81
	ds_store_b32 v185, v4 offset:648
	v_lshrrev_b32_e32 v210, 16, v69
	v_lshrrev_b32_e32 v213, 16, v68
	;; [unrolled: 1-line block ×5, first 2 shown]
	v_mul_f16_e64 v6, v97, v210
	v_mul_f16_e64 v2, v0, v210
	;; [unrolled: 1-line block ×3, first 2 shown]
	v_lshrrev_b32_e32 v218, 16, v72
	v_lshrrev_b32_e32 v221, 16, v74
	v_fmac_f16_e32 v6, v0, v69
	v_lshrrev_b32_e32 v0, 16, v102
	v_fma_f16 v2, v97, v69, -v2
	v_lshrrev_b32_e32 v220, 16, v75
	s_delay_alu instid0(VALU_DEP_3) | instskip(SKIP_1) | instid1(VALU_DEP_2)
	v_fmac_f16_e32 v1, v0, v68
	v_mul_f16_e64 v0, v0, v213
	v_add_f16_e32 v9, v1, v6
	s_delay_alu instid0(VALU_DEP_2) | instskip(SKIP_1) | instid1(VALU_DEP_2)
	v_fma_f16 v0, v102, v68, -v0
	v_lshlrev_b32_e32 v102, 3, v147
	v_add_f16_e32 v3, v0, v2
	v_add_f16_e32 v8, v95, v0
	v_sub_f16_e32 v0, v0, v2
	s_delay_alu instid0(VALU_DEP_3)
	v_fmac_f16_e32 v95, -0.5, v3
	v_add_f16_e32 v3, v7, v1
	v_sub_f16_e32 v1, v1, v6
	v_fmac_f16_e32 v7, -0.5, v9
	v_add_f16_e32 v5, v8, v2
	v_mad_u16 v2, 0xf3, v14, v16
	v_add_f16_e32 v3, v3, v6
	v_fmamk_f16 v4, v1, 0x3aee, v95
	v_fmac_f16_e32 v95, 0xbaee, v1
	v_lshrrev_b32_e32 v1, 16, v103
	v_and_b32_e32 v2, 0xffff, v2
	v_pack_b32_f16 v3, v5, v3
	v_fmamk_f16 v5, v0, 0xbaee, v7
	v_fmac_f16_e32 v7, 0x3aee, v0
	s_delay_alu instid0(VALU_DEP_4) | instskip(SKIP_1) | instid1(VALU_DEP_4)
	v_lshlrev_b32_e32 v189, 2, v2
	v_mul_f16_e64 v2, v1, v216
	v_pack_b32_f16 v4, v4, v5
	v_lshrrev_b32_e32 v5, 16, v104
	v_pack_b32_f16 v0, v95, v7
	s_delay_alu instid0(VALU_DEP_4)
	v_fma_f16 v2, v103, v70, -v2
	ds_store_2addr_b32 v189, v3, v4 offset1:81
	v_mul_f16_e64 v3, v103, v216
	v_mul_f16_e64 v4, v106, v152
	ds_store_b32 v189, v0 offset:648
	v_mad_u16 v0, 0xf3, v15, v17
	v_fmac_f16_e32 v3, v1, v70
	v_lshrrev_b32_e32 v1, 16, v106
	s_delay_alu instid0(VALU_DEP_3) | instskip(NEXT) | instid1(VALU_DEP_3)
	v_and_b32_e32 v0, 0xffff, v0
	v_add_f16_e32 v6, v5, v3
	s_delay_alu instid0(VALU_DEP_3) | instskip(SKIP_1) | instid1(VALU_DEP_4)
	v_fmac_f16_e32 v4, v1, v71
	v_mul_f16_e64 v1, v1, v152
	v_lshlrev_b32_e32 v191, 2, v0
	v_lshrrev_b32_e32 v0, 16, v107
	s_delay_alu instid0(VALU_DEP_4)
	v_add_f16_e32 v7, v3, v4
	v_sub_f16_e32 v3, v3, v4
	v_add_f16_e32 v4, v6, v4
	v_fma_f16 v1, v106, v71, -v1
	v_add_f16_e32 v6, v104, v2
	v_fmac_f16_e32 v5, -0.5, v7
	s_delay_alu instid0(VALU_DEP_3) | instskip(NEXT) | instid1(VALU_DEP_3)
	v_add_f16_e32 v7, v2, v1
	v_add_f16_e32 v6, v6, v1
	v_sub_f16_e32 v1, v2, v1
	s_delay_alu instid0(VALU_DEP_2) | instskip(NEXT) | instid1(VALU_DEP_4)
	v_pack_b32_f16 v2, v6, v4
	v_fma_f16 v4, -0.5, v7, v104
	s_delay_alu instid0(VALU_DEP_3) | instskip(SKIP_2) | instid1(VALU_DEP_4)
	v_fmamk_f16 v7, v1, 0xbaee, v5
	v_fmac_f16_e32 v5, 0x3aee, v1
	v_mul_f16_e64 v1, v108, v218
	v_fmamk_f16 v6, v3, 0x3aee, v4
	v_fmac_f16_e32 v4, 0xbaee, v3
	s_delay_alu instid0(VALU_DEP_2) | instskip(SKIP_1) | instid1(VALU_DEP_3)
	v_pack_b32_f16 v6, v6, v7
	v_lshrrev_b32_e32 v7, 16, v105
	v_pack_b32_f16 v4, v4, v5
	ds_store_2addr_b32 v191, v2, v6 offset1:81
	v_mul_f16_e64 v6, v107, v217
	v_mul_f16_e64 v2, v0, v217
	ds_store_b32 v191, v4 offset:648
	v_fmac_f16_e32 v6, v0, v73
	v_lshrrev_b32_e32 v0, 16, v108
	v_fma_f16 v2, v107, v73, -v2
	s_delay_alu instid0(VALU_DEP_2) | instskip(SKIP_1) | instid1(VALU_DEP_2)
	v_fmac_f16_e32 v1, v0, v72
	v_mul_f16_e64 v0, v0, v218
	v_add_f16_e32 v9, v1, v6
	s_delay_alu instid0(VALU_DEP_2) | instskip(NEXT) | instid1(VALU_DEP_1)
	v_fma_f16 v0, v108, v72, -v0
	v_add_f16_e32 v3, v0, v2
	v_add_f16_e32 v8, v105, v0
	v_sub_f16_e32 v0, v0, v2
	s_delay_alu instid0(VALU_DEP_3)
	v_fmac_f16_e32 v105, -0.5, v3
	v_add_f16_e32 v3, v7, v1
	v_sub_f16_e32 v1, v1, v6
	v_fmac_f16_e32 v7, -0.5, v9
	v_add_f16_e32 v5, v8, v2
	v_mad_u16 v2, 0xf3, v18, v86
	v_add_f16_e32 v3, v3, v6
	v_fmamk_f16 v4, v1, 0x3aee, v105
	v_fmac_f16_e32 v105, 0xbaee, v1
	v_lshrrev_b32_e32 v1, 16, v109
	v_and_b32_e32 v2, 0xffff, v2
	v_pack_b32_f16 v3, v5, v3
	v_fmamk_f16 v5, v0, 0xbaee, v7
	v_fmac_f16_e32 v7, 0x3aee, v0
	v_lshrrev_b32_e32 v6, 16, v80
	v_lshlrev_b32_e32 v196, 2, v2
	v_mul_f16_e64 v2, v1, v221
	v_pack_b32_f16 v4, v4, v5
	v_mul_f16_e64 v5, v111, v220
	v_pack_b32_f16 v0, v105, v7
	s_delay_alu instid0(VALU_DEP_4)
	v_fma_f16 v2, v109, v74, -v2
	ds_store_2addr_b32 v196, v3, v4 offset1:81
	v_mul_f16_e64 v3, v109, v221
	ds_store_b32 v196, v0 offset:648
	v_add_f16_e32 v7, v80, v2
	v_fmac_f16_e32 v3, v1, v74
	v_lshrrev_b32_e32 v1, 16, v111
	s_delay_alu instid0(VALU_DEP_1) | instskip(SKIP_1) | instid1(VALU_DEP_2)
	v_mul_f16_e64 v4, v1, v220
	v_fmac_f16_e32 v5, v1, v75
	v_fma_f16 v4, v111, v75, -v4
	s_delay_alu instid0(VALU_DEP_1) | instskip(NEXT) | instid1(VALU_DEP_1)
	v_add_f16_e32 v1, v2, v4
	v_fmac_f16_e32 v80, -0.5, v1
	s_delay_alu instid0(VALU_DEP_4) | instskip(NEXT) | instid1(VALU_DEP_1)
	v_sub_f16_e32 v1, v3, v5
	v_fmamk_f16 v8, v1, 0x3aee, v80
	v_fmac_f16_e32 v80, 0xbaee, v1
	v_add_f16_e32 v1, v3, v5
	v_add_f16_e32 v3, v6, v3
	s_delay_alu instid0(VALU_DEP_2) | instskip(SKIP_2) | instid1(VALU_DEP_4)
	v_fmac_f16_e32 v6, -0.5, v1
	v_sub_f16_e32 v1, v2, v4
	v_add_f16_e32 v4, v7, v4
	v_add_f16_e32 v3, v3, v5
	v_mad_u16 v5, 0xf3, v19, v110
	s_delay_alu instid0(VALU_DEP_4) | instskip(SKIP_1) | instid1(VALU_DEP_4)
	v_fmamk_f16 v2, v1, 0xbaee, v6
	v_fmac_f16_e32 v6, 0x3aee, v1
	v_pack_b32_f16 v0, v4, v3
	s_delay_alu instid0(VALU_DEP_4) | instskip(NEXT) | instid1(VALU_DEP_4)
	v_and_b32_e32 v3, 0xffff, v5
	v_pack_b32_f16 v2, v8, v2
	s_delay_alu instid0(VALU_DEP_4) | instskip(NEXT) | instid1(VALU_DEP_3)
	v_pack_b32_f16 v1, v80, v6
	v_lshlrev_b32_e32 v197, 2, v3
	ds_store_2addr_b32 v197, v0, v2 offset1:81
	ds_store_b32 v197, v1 offset:648
	v_mul_u32_u24_e32 v0, 0xdb3, v77
	s_waitcnt lgkmcnt(0)
	s_waitcnt_vscnt null, 0x0
	s_barrier
	buffer_gl0_inv
	v_lshrrev_b32_e32 v0, 16, v0
	s_delay_alu instid0(VALU_DEP_1) | instskip(NEXT) | instid1(VALU_DEP_1)
	v_sub_nc_u16 v1, v84, v0
	v_lshrrev_b16 v1, 1, v1
	s_delay_alu instid0(VALU_DEP_1) | instskip(SKIP_1) | instid1(VALU_DEP_2)
	v_add_nc_u16 v0, v1, v0
	v_mul_u32_u24_e32 v1, 0xdb3, v76
	v_lshrrev_b16 v0, 7, v0
	s_delay_alu instid0(VALU_DEP_2) | instskip(NEXT) | instid1(VALU_DEP_2)
	v_lshrrev_b32_e32 v1, 16, v1
	v_mul_lo_u16 v0, 0xf3, v0
	s_delay_alu instid0(VALU_DEP_2) | instskip(NEXT) | instid1(VALU_DEP_2)
	v_sub_nc_u16 v2, v98, v1
	v_sub_nc_u16 v0, v84, v0
	s_delay_alu instid0(VALU_DEP_2) | instskip(NEXT) | instid1(VALU_DEP_1)
	v_lshrrev_b16 v2, 1, v2
	v_add_nc_u16 v1, v2, v1
	v_mul_u32_u24_e32 v2, 0xdb3, v79
	s_delay_alu instid0(VALU_DEP_2) | instskip(NEXT) | instid1(VALU_DEP_2)
	v_lshrrev_b16 v1, 7, v1
	v_lshrrev_b32_e32 v2, 16, v2
	s_delay_alu instid0(VALU_DEP_2) | instskip(NEXT) | instid1(VALU_DEP_2)
	v_mul_lo_u16 v1, 0xf3, v1
	v_sub_nc_u16 v3, v115, v2
	s_delay_alu instid0(VALU_DEP_2) | instskip(NEXT) | instid1(VALU_DEP_2)
	v_sub_nc_u16 v1, v98, v1
	v_lshrrev_b16 v3, 1, v3
	s_delay_alu instid0(VALU_DEP_1) | instskip(SKIP_1) | instid1(VALU_DEP_2)
	v_add_nc_u16 v2, v3, v2
	v_mul_u32_u24_e32 v3, 0xdb3, v78
	v_lshrrev_b16 v2, 7, v2
	s_delay_alu instid0(VALU_DEP_2) | instskip(NEXT) | instid1(VALU_DEP_2)
	v_lshrrev_b32_e32 v3, 16, v3
	v_mul_lo_u16 v2, 0xf3, v2
	s_delay_alu instid0(VALU_DEP_2) | instskip(NEXT) | instid1(VALU_DEP_2)
	v_sub_nc_u16 v4, v113, v3
	v_sub_nc_u16 v2, v115, v2
	s_delay_alu instid0(VALU_DEP_2) | instskip(NEXT) | instid1(VALU_DEP_2)
	v_lshrrev_b16 v4, 1, v4
	v_lshlrev_b16 v8, 3, v2
	s_delay_alu instid0(VALU_DEP_2) | instskip(SKIP_2) | instid1(VALU_DEP_4)
	v_add_nc_u16 v3, v4, v3
	v_mul_u32_u24_e32 v4, 0xdb3, v101
	v_and_b32_e32 v2, 0xffff, v2
	v_and_b32_e32 v8, 0xffff, v8
	s_delay_alu instid0(VALU_DEP_4) | instskip(NEXT) | instid1(VALU_DEP_4)
	v_lshrrev_b16 v3, 7, v3
	v_lshrrev_b32_e32 v4, 16, v4
	s_delay_alu instid0(VALU_DEP_4) | instskip(NEXT) | instid1(VALU_DEP_3)
	v_lshlrev_b32_e32 v2, 2, v2
	v_mul_lo_u16 v3, 0xf3, v3
	s_delay_alu instid0(VALU_DEP_3) | instskip(NEXT) | instid1(VALU_DEP_3)
	v_sub_nc_u16 v5, v114, v4
	v_mov_b32_e32 v22, v2
	s_delay_alu instid0(VALU_DEP_3) | instskip(NEXT) | instid1(VALU_DEP_3)
	v_sub_nc_u16 v3, v113, v3
	v_lshrrev_b16 v5, 1, v5
	s_delay_alu instid0(VALU_DEP_1) | instskip(SKIP_1) | instid1(VALU_DEP_2)
	v_add_nc_u16 v4, v5, v4
	v_mul_u32_u24_e32 v5, 0xdb3, v100
	v_lshrrev_b16 v4, 7, v4
	s_delay_alu instid0(VALU_DEP_2) | instskip(NEXT) | instid1(VALU_DEP_2)
	v_lshrrev_b32_e32 v5, 16, v5
	v_mul_lo_u16 v4, 0xf3, v4
	s_delay_alu instid0(VALU_DEP_2) | instskip(NEXT) | instid1(VALU_DEP_2)
	v_sub_nc_u16 v6, v112, v5
	v_sub_nc_u16 v4, v114, v4
	s_delay_alu instid0(VALU_DEP_2) | instskip(NEXT) | instid1(VALU_DEP_2)
	v_lshrrev_b16 v6, 1, v6
	v_lshlrev_b16 v14, 3, v4
	s_delay_alu instid0(VALU_DEP_2) | instskip(SKIP_2) | instid1(VALU_DEP_4)
	v_add_nc_u16 v5, v6, v5
	v_mul_u32_u24_e32 v6, 0xdb3, v99
	v_and_b32_e32 v4, 0xffff, v4
	v_and_b32_e32 v14, 0xffff, v14
	s_delay_alu instid0(VALU_DEP_4) | instskip(NEXT) | instid1(VALU_DEP_4)
	v_lshrrev_b16 v5, 7, v5
	v_lshrrev_b32_e32 v6, 16, v6
	s_delay_alu instid0(VALU_DEP_4) | instskip(NEXT) | instid1(VALU_DEP_3)
	v_lshlrev_b32_e32 v4, 2, v4
	v_mul_lo_u16 v5, 0xf3, v5
	s_delay_alu instid0(VALU_DEP_3) | instskip(NEXT) | instid1(VALU_DEP_2)
	v_sub_nc_u16 v7, v141, v6
	v_sub_nc_u16 v5, v112, v5
	s_delay_alu instid0(VALU_DEP_2) | instskip(NEXT) | instid1(VALU_DEP_1)
	v_lshrrev_b16 v7, 1, v7
	v_add_nc_u16 v6, v7, v6
	v_lshlrev_b16 v7, 3, v0
	v_and_b32_e32 v0, 0xffff, v0
	s_delay_alu instid0(VALU_DEP_3) | instskip(NEXT) | instid1(VALU_DEP_3)
	v_lshrrev_b16 v6, 7, v6
	v_and_b32_e32 v7, 0xffff, v7
	s_delay_alu instid0(VALU_DEP_3) | instskip(NEXT) | instid1(VALU_DEP_3)
	v_lshlrev_b32_e32 v0, 2, v0
	v_mul_lo_u16 v6, 0xf3, v6
	s_delay_alu instid0(VALU_DEP_3) | instskip(SKIP_2) | instid1(VALU_DEP_4)
	v_add_co_u32 v76, s2, s6, v7
	v_lshlrev_b16 v7, 3, v1
	v_add_co_ci_u32_e64 v77, null, s7, 0, s2
	v_sub_nc_u16 v6, v141, v6
	s_delay_alu instid0(VALU_DEP_3) | instskip(SKIP_1) | instid1(VALU_DEP_2)
	v_dual_mov_b32 v20, v0 :: v_dual_and_b32 v7, 0xffff, v7
	v_and_b32_e32 v1, 0xffff, v1
	v_add_co_u32 v80, s2, s6, v7
	s_delay_alu instid0(VALU_DEP_1) | instskip(SKIP_1) | instid1(VALU_DEP_1)
	v_add_co_ci_u32_e64 v81, null, s7, 0, s2
	v_add_co_u32 v82, s2, s6, v8
	v_add_co_ci_u32_e64 v83, null, s7, 0, s2
	s_clause 0x3
	global_load_b64 v[78:79], v[76:77], off offset:960
	global_load_b64 v[80:81], v[80:81], off offset:960
	;; [unrolled: 1-line block ×3, first 2 shown]
	global_load_b64 v[76:77], v102, s[6:7] offset:960
	ds_load_2addr_b32 v[86:87], v188 offset0:8 offset1:251
	ds_load_2addr_b32 v[91:92], v187 offset0:6 offset1:249
	ds_load_2addr_b32 v[103:104], v122 offset1:243
	v_lshlrev_b32_e32 v1, 2, v1
	s_delay_alu instid0(VALU_DEP_1)
	v_mov_b32_e32 v21, v1
	s_waitcnt lgkmcnt(2)
	v_lshrrev_b32_e32 v7, 16, v87
	s_waitcnt lgkmcnt(1)
	v_lshrrev_b32_e32 v9, 16, v91
	;; [unrolled: 2-line block ×3, first 2 shown]
	s_waitcnt vmcnt(3)
	v_lshrrev_b32_e32 v222, 16, v78
	v_lshrrev_b32_e32 v155, 16, v79
	s_waitcnt vmcnt(2)
	v_lshrrev_b32_e32 v223, 16, v81
	s_waitcnt vmcnt(0)
	v_lshrrev_b32_e32 v214, 16, v76
	v_lshrrev_b32_e32 v157, 16, v77
	v_lshrrev_b32_e32 v224, 16, v80
	v_lshrrev_b32_e32 v228, 16, v82
	v_lshrrev_b32_e32 v229, 16, v83
	v_mul_f16_e64 v8, v87, v214
	v_mul_f16_e64 v10, v91, v157
	s_delay_alu instid0(VALU_DEP_2) | instskip(SKIP_1) | instid1(VALU_DEP_3)
	v_fmac_f16_e32 v8, v7, v76
	v_mul_f16_e64 v7, v7, v214
	v_fmac_f16_e32 v10, v9, v77
	v_mul_f16_e64 v9, v9, v157
	s_delay_alu instid0(VALU_DEP_4) | instskip(NEXT) | instid1(VALU_DEP_4)
	v_add_f16_e32 v12, v11, v8
	v_fma_f16 v7, v87, v76, -v7
	s_delay_alu instid0(VALU_DEP_4)
	v_add_f16_e32 v13, v8, v10
	v_sub_f16_e32 v8, v8, v10
	v_fma_f16 v9, v91, v77, -v9
	v_add_f16_e32 v10, v12, v10
	v_add_f16_e32 v12, v103, v7
	v_fmac_f16_e32 v11, -0.5, v13
	s_delay_alu instid0(VALU_DEP_4) | instskip(SKIP_1) | instid1(VALU_DEP_4)
	v_add_f16_e32 v13, v7, v9
	v_sub_f16_e32 v7, v7, v9
	v_add_f16_e32 v12, v12, v9
	s_delay_alu instid0(VALU_DEP_1) | instskip(NEXT) | instid1(VALU_DEP_4)
	v_pack_b32_f16 v9, v12, v10
	v_fma_f16 v10, -0.5, v13, v103
	s_delay_alu instid0(VALU_DEP_4) | instskip(SKIP_1) | instid1(VALU_DEP_3)
	v_fmamk_f16 v13, v7, 0xbaee, v11
	v_fmac_f16_e32 v11, 0x3aee, v7
	v_fmamk_f16 v12, v8, 0x3aee, v10
	v_fmac_f16_e32 v10, 0xbaee, v8
	s_delay_alu instid0(VALU_DEP_2) | instskip(SKIP_1) | instid1(VALU_DEP_3)
	v_pack_b32_f16 v12, v12, v13
	v_lshlrev_b16 v13, 3, v3
	v_pack_b32_f16 v7, v10, v11
	v_lshrrev_b32_e32 v11, 16, v104
	v_and_b32_e32 v3, 0xffff, v3
	s_delay_alu instid0(VALU_DEP_4) | instskip(NEXT) | instid1(VALU_DEP_2)
	v_and_b32_e32 v13, 0xffff, v13
	v_lshlrev_b32_e32 v3, 2, v3
	s_delay_alu instid0(VALU_DEP_2) | instskip(SKIP_4) | instid1(VALU_DEP_4)
	v_add_co_u32 v87, s2, s6, v13
	v_lshlrev_b16 v13, 3, v5
	v_add_co_ci_u32_e64 v88, null, s7, 0, s2
	v_add_co_u32 v90, s2, s6, v14
	v_lshlrev_b16 v14, 3, v6
	v_and_b32_e32 v13, 0xffff, v13
	v_add_co_ci_u32_e64 v91, null, s7, 0, s2
	s_delay_alu instid0(VALU_DEP_3) | instskip(NEXT) | instid1(VALU_DEP_3)
	v_dual_mov_b32 v23, v3 :: v_dual_and_b32 v14, 0xffff, v14
	v_add_co_u32 v93, s2, s6, v13
	s_delay_alu instid0(VALU_DEP_1) | instskip(NEXT) | instid1(VALU_DEP_3)
	v_add_co_ci_u32_e64 v94, null, s7, 0, s2
	v_add_co_u32 v96, s2, s6, v14
	s_delay_alu instid0(VALU_DEP_1)
	v_add_co_ci_u32_e64 v97, null, s7, 0, s2
	s_clause 0x3
	global_load_b64 v[88:89], v[87:88], off offset:960
	global_load_b64 v[90:91], v[90:91], off offset:960
	;; [unrolled: 1-line block ×4, first 2 shown]
	ds_load_b32 v13, v122 offset:25272
	ds_load_2addr_b32 v[105:106], v179 offset0:6 offset1:249
	ds_load_2addr_b32 v[107:108], v176 offset0:6 offset1:249
	;; [unrolled: 1-line block ×9, first 2 shown]
	ds_load_2addr_b32 v[225:226], v171 offset1:243
	s_waitcnt vmcnt(0) lgkmcnt(0)
	s_barrier
	buffer_gl0_inv
	ds_store_2addr_b32 v122, v9, v12 offset1:243
	v_lshrrev_b32_e32 v9, 16, v92
	v_mul_f16_e64 v14, v92, v157
	v_and_b32_e32 v5, 0xffff, v5
	v_and_b32_e32 v6, 0xffff, v6
	scratch_store_b32 off, v22, off offset:404 ; 4-byte Folded Spill
	v_mul_f16_e64 v12, v9, v157
	v_fmac_f16_e32 v14, v9, v77
	v_lshrrev_b32_e32 v8, 16, v105
	v_mul_f16_e64 v9, v105, v214
	v_lshrrev_b32_e32 v16, 16, v108
	v_fma_f16 v12, v92, v77, -v12
	v_lshrrev_b32_e32 v19, 16, v119
	v_lshlrev_b32_e32 v5, 2, v5
	v_fmac_f16_e32 v9, v8, v76
	v_mul_f16_e64 v8, v8, v214
	v_lshrrev_b32_e32 v93, 16, v167
	v_lshlrev_b32_e32 v6, 2, v6
	s_delay_alu instid0(VALU_DEP_4) | instskip(NEXT) | instid1(VALU_DEP_4)
	v_add_f16_e32 v15, v11, v9
	v_fma_f16 v8, v105, v76, -v8
	v_mov_b32_e32 v105, v4
	s_delay_alu instid0(VALU_DEP_3) | instskip(NEXT) | instid1(VALU_DEP_3)
	v_add_f16_e32 v15, v15, v14
	v_add_f16_e32 v10, v104, v8
	scratch_store_b32 off, v105, off offset:388 ; 4-byte Folded Spill
	v_add_f16_e32 v10, v10, v12
	s_delay_alu instid0(VALU_DEP_1) | instskip(SKIP_3) | instid1(VALU_DEP_2)
	v_pack_b32_f16 v10, v10, v15
	ds_store_2addr_b32 v176, v7, v10 offset0:6 offset1:249
	v_add_f16_e32 v7, v8, v12
	v_mul_f16_e64 v10, v109, v155
	v_fmac_f16_e32 v104, -0.5, v7
	v_add_f16_e32 v7, v9, v14
	v_sub_f16_e32 v9, v9, v14
	s_delay_alu instid0(VALU_DEP_2) | instskip(SKIP_1) | instid1(VALU_DEP_3)
	v_fmac_f16_e32 v11, -0.5, v7
	v_sub_f16_e32 v7, v8, v12
	v_fmamk_f16 v8, v9, 0x3aee, v104
	v_fmac_f16_e32 v104, 0xbaee, v9
	s_delay_alu instid0(VALU_DEP_3) | instskip(SKIP_1) | instid1(VALU_DEP_2)
	v_fmamk_f16 v9, v7, 0xbaee, v11
	v_fmac_f16_e32 v11, 0x3aee, v7
	v_pack_b32_f16 v8, v8, v9
	s_delay_alu instid0(VALU_DEP_2) | instskip(SKIP_4) | instid1(VALU_DEP_1)
	v_pack_b32_f16 v7, v104, v11
	v_mul_f16_e64 v9, v106, v222
	v_lshrrev_b32_e32 v11, 16, v107
	ds_store_2addr_b32 v159, v8, v7 offset0:12 offset1:255
	v_lshrrev_b32_e32 v7, 16, v106
	v_mul_f16_e64 v8, v7, v222
	v_fmac_f16_e32 v9, v7, v78
	v_lshrrev_b32_e32 v7, 16, v109
	s_delay_alu instid0(VALU_DEP_3) | instskip(NEXT) | instid1(VALU_DEP_3)
	v_fma_f16 v8, v106, v78, -v8
	v_add_f16_e32 v12, v11, v9
	s_delay_alu instid0(VALU_DEP_3) | instskip(SKIP_1) | instid1(VALU_DEP_2)
	v_fmac_f16_e32 v10, v7, v79
	v_mul_f16_e64 v7, v7, v155
	v_add_f16_e32 v14, v9, v10
	v_sub_f16_e32 v9, v9, v10
	v_add_f16_e32 v10, v12, v10
	s_delay_alu instid0(VALU_DEP_4) | instskip(SKIP_2) | instid1(VALU_DEP_3)
	v_fma_f16 v7, v109, v79, -v7
	v_add_f16_e32 v12, v107, v8
	v_fmac_f16_e32 v11, -0.5, v14
	v_add_f16_e32 v14, v8, v7
	s_delay_alu instid0(VALU_DEP_3) | instskip(SKIP_1) | instid1(VALU_DEP_2)
	v_add_f16_e32 v12, v12, v7
	v_sub_f16_e32 v7, v8, v7
	v_pack_b32_f16 v8, v12, v10
	s_delay_alu instid0(VALU_DEP_4) | instskip(NEXT) | instid1(VALU_DEP_3)
	v_fma_f16 v10, -0.5, v14, v107
	v_fmamk_f16 v14, v7, 0xbaee, v11
	v_fmac_f16_e32 v11, 0x3aee, v7
	s_delay_alu instid0(VALU_DEP_3) | instskip(SKIP_1) | instid1(VALU_DEP_2)
	v_fmamk_f16 v12, v9, 0x3aee, v10
	v_fmac_f16_e32 v10, 0xbaee, v9
	v_pack_b32_f16 v12, v12, v14
	v_add_nc_u32_e32 v14, 0x16c0, v0
	v_lshrrev_b32_e32 v0, 16, v110
	ds_store_2addr_b32 v14, v8, v12 offset0:2 offset1:245
	v_mul_f16_e64 v12, v110, v223
	scratch_store_b32 off, v14, off offset:376 ; 4-byte Folded Spill
	v_mul_f16_e64 v8, v0, v223
	v_mul_f16_e64 v14, v116, v224
	v_fmac_f16_e32 v12, v0, v81
	v_lshrrev_b32_e32 v0, 16, v116
	s_delay_alu instid0(VALU_DEP_4) | instskip(NEXT) | instid1(VALU_DEP_2)
	v_fma_f16 v8, v110, v81, -v8
	v_fmac_f16_e32 v14, v0, v80
	v_mul_f16_e64 v0, v0, v224
	s_delay_alu instid0(VALU_DEP_2) | instskip(NEXT) | instid1(VALU_DEP_2)
	v_add_f16_e32 v18, v14, v12
	v_fma_f16 v0, v116, v80, -v0
	s_delay_alu instid0(VALU_DEP_1) | instskip(SKIP_2) | instid1(VALU_DEP_3)
	v_add_f16_e32 v15, v0, v8
	v_add_f16_e32 v17, v108, v0
	v_sub_f16_e32 v0, v0, v8
	v_fmac_f16_e32 v108, -0.5, v15
	v_add_f16_e32 v15, v16, v14
	v_sub_f16_e32 v14, v14, v12
	v_fmac_f16_e32 v16, -0.5, v18
	s_delay_alu instid0(VALU_DEP_3) | instskip(SKIP_1) | instid1(VALU_DEP_1)
	v_add_f16_e32 v12, v15, v12
	v_add_f16_e32 v15, v17, v8
	v_pack_b32_f16 v8, v15, v12
	v_fmamk_f16 v12, v14, 0x3aee, v108
	v_fmamk_f16 v15, v0, 0xbaee, v16
	v_fmac_f16_e32 v108, 0xbaee, v14
	v_fmac_f16_e32 v16, 0x3aee, v0
	v_mul_f16_e64 v14, v153, v229
	s_delay_alu instid0(VALU_DEP_4)
	v_pack_b32_f16 v12, v12, v15
	v_add_nc_u32_e32 v15, 0x2200, v1
	v_lshrrev_b32_e32 v1, 16, v117
	v_pack_b32_f16 v0, v108, v16
	ds_store_2addr_b32 v15, v8, v12 offset0:11 offset1:254
	v_mul_f16_e64 v12, v117, v228
	scratch_store_b32 off, v15, off offset:356 ; 4-byte Folded Spill
	v_mul_f16_e64 v8, v1, v228
	v_lshrrev_b32_e32 v15, 16, v118
	v_fmac_f16_e32 v12, v1, v82
	v_lshrrev_b32_e32 v1, 16, v153
	s_delay_alu instid0(VALU_DEP_4) | instskip(NEXT) | instid1(VALU_DEP_3)
	v_fma_f16 v8, v117, v82, -v8
	v_add_f16_e32 v16, v15, v12
	s_delay_alu instid0(VALU_DEP_3) | instskip(SKIP_1) | instid1(VALU_DEP_2)
	v_fmac_f16_e32 v14, v1, v83
	v_mul_f16_e64 v1, v1, v229
	v_add_f16_e32 v17, v12, v14
	v_sub_f16_e32 v12, v12, v14
	v_add_f16_e32 v14, v16, v14
	s_delay_alu instid0(VALU_DEP_4) | instskip(SKIP_2) | instid1(VALU_DEP_3)
	v_fma_f16 v1, v153, v83, -v1
	v_add_f16_e32 v16, v118, v8
	v_fmac_f16_e32 v15, -0.5, v17
	v_add_f16_e32 v17, v8, v1
	s_delay_alu instid0(VALU_DEP_3) | instskip(SKIP_1) | instid1(VALU_DEP_2)
	v_add_f16_e32 v16, v16, v1
	v_sub_f16_e32 v1, v8, v1
	v_pack_b32_f16 v8, v16, v14
	s_delay_alu instid0(VALU_DEP_4) | instskip(NEXT) | instid1(VALU_DEP_3)
	v_fma_f16 v14, -0.5, v17, v118
	v_fmamk_f16 v17, v1, 0xbaee, v15
	v_fmac_f16_e32 v15, 0x3aee, v1
	v_pack_b32_f16 v1, v10, v11
	s_delay_alu instid0(VALU_DEP_4) | instskip(SKIP_1) | instid1(VALU_DEP_2)
	v_fmamk_f16 v16, v12, 0x3aee, v14
	v_fmac_f16_e32 v14, 0xbaee, v12
	v_pack_b32_f16 v16, v16, v17
	v_add_nc_u32_e32 v17, 0x2d80, v2
	v_lshrrev_b32_e32 v2, 16, v154
	ds_store_2addr_b32 v17, v8, v16 offset0:4 offset1:247
	scratch_store_b32 off, v17, off offset:360 ; 4-byte Folded Spill
	v_lshrrev_b32_e32 v233, 16, v89
	v_lshrrev_b32_e32 v234, 16, v88
	;; [unrolled: 1-line block ×5, first 2 shown]
	v_mul_f16_e64 v16, v154, v233
	v_mul_f16_e64 v8, v2, v233
	;; [unrolled: 1-line block ×3, first 2 shown]
	v_lshrrev_b32_e32 v242, 16, v94
	v_lshrrev_b32_e32 v244, 16, v96
	v_fmac_f16_e32 v16, v2, v89
	v_lshrrev_b32_e32 v2, 16, v164
	v_fma_f16 v8, v154, v89, -v8
	v_lshrrev_b32_e32 v243, 16, v97
	s_delay_alu instid0(VALU_DEP_3) | instskip(SKIP_1) | instid1(VALU_DEP_2)
	v_fmac_f16_e32 v17, v2, v88
	v_mul_f16_e64 v2, v2, v234
	v_add_f16_e32 v92, v17, v16
	s_delay_alu instid0(VALU_DEP_2) | instskip(NEXT) | instid1(VALU_DEP_1)
	v_fma_f16 v2, v164, v88, -v2
	v_add_f16_e32 v18, v2, v8
	v_add_f16_e32 v87, v119, v2
	v_sub_f16_e32 v2, v2, v8
	s_delay_alu instid0(VALU_DEP_3) | instskip(SKIP_3) | instid1(VALU_DEP_3)
	v_fmac_f16_e32 v119, -0.5, v18
	v_add_f16_e32 v18, v19, v17
	v_sub_f16_e32 v17, v17, v16
	v_fmac_f16_e32 v19, -0.5, v92
	v_add_f16_e32 v16, v18, v16
	v_add_f16_e32 v18, v87, v8
	s_delay_alu instid0(VALU_DEP_1)
	v_pack_b32_f16 v8, v18, v16
	v_fmamk_f16 v16, v17, 0x3aee, v119
	v_fmamk_f16 v18, v2, 0xbaee, v19
	v_fmac_f16_e32 v119, 0xbaee, v17
	v_fmac_f16_e32 v19, 0x3aee, v2
	v_mul_f16_e64 v17, v211, v238
	s_delay_alu instid0(VALU_DEP_4)
	v_pack_b32_f16 v16, v16, v18
	v_add_nc_u32_e32 v18, 0x38e0, v3
	v_lshrrev_b32_e32 v3, 16, v165
	v_pack_b32_f16 v2, v119, v19
	scratch_store_b32 off, v18, off offset:364 ; 4-byte Folded Spill
	ds_store_2addr_b32 v18, v8, v16 offset0:5 offset1:248
	v_mul_f16_e64 v16, v165, v237
	v_mul_f16_e64 v8, v3, v237
	v_lshrrev_b32_e32 v18, 16, v166
	s_delay_alu instid0(VALU_DEP_3) | instskip(SKIP_1) | instid1(VALU_DEP_4)
	v_fmac_f16_e32 v16, v3, v90
	v_lshrrev_b32_e32 v3, 16, v211
	v_fma_f16 v8, v165, v90, -v8
	s_delay_alu instid0(VALU_DEP_3) | instskip(NEXT) | instid1(VALU_DEP_3)
	v_add_f16_e32 v19, v18, v16
	v_fmac_f16_e32 v17, v3, v91
	v_mul_f16_e64 v3, v3, v238
	s_delay_alu instid0(VALU_DEP_2) | instskip(SKIP_2) | instid1(VALU_DEP_4)
	v_add_f16_e32 v87, v16, v17
	v_sub_f16_e32 v16, v16, v17
	v_add_f16_e32 v17, v19, v17
	v_fma_f16 v3, v211, v91, -v3
	v_add_f16_e64 v19, v166, v8
	v_fmac_f16_e32 v18, -0.5, v87
	s_delay_alu instid0(VALU_DEP_3) | instskip(NEXT) | instid1(VALU_DEP_3)
	v_add_f16_e32 v87, v8, v3
	v_add_f16_e32 v19, v19, v3
	v_sub_f16_e32 v3, v8, v3
	s_delay_alu instid0(VALU_DEP_2) | instskip(NEXT) | instid1(VALU_DEP_4)
	v_pack_b32_f16 v8, v19, v17
	v_fma_f16 v17, -0.5, v87, v166
	s_delay_alu instid0(VALU_DEP_3) | instskip(SKIP_2) | instid1(VALU_DEP_4)
	v_fmamk_f16 v87, v3, 0xbaee, v18
	v_fmac_f16_e32 v18, 0x3aee, v3
	v_pack_b32_f16 v3, v14, v15
	v_fmamk_f16 v19, v16, 0x3aee, v17
	v_fmac_f16_e32 v17, 0xbaee, v16
	s_delay_alu instid0(VALU_DEP_2)
	v_pack_b32_f16 v19, v19, v87
	v_add_nc_u32_e32 v87, 0x4440, v4
	v_lshrrev_b32_e32 v4, 16, v212
	scratch_store_b32 off, v87, off offset:368 ; 4-byte Folded Spill
	ds_store_2addr_b32 v87, v8, v19 offset0:6 offset1:249
	v_mul_f16_e64 v19, v212, v241
	v_mul_f16_e64 v8, v4, v241
	;; [unrolled: 1-line block ×3, first 2 shown]
	s_delay_alu instid0(VALU_DEP_3) | instskip(SKIP_1) | instid1(VALU_DEP_4)
	v_fmac_f16_e32 v19, v4, v95
	v_lshrrev_b32_e32 v4, 16, v225
	v_fma_f16 v8, v212, v95, -v8
	s_delay_alu instid0(VALU_DEP_2) | instskip(SKIP_1) | instid1(VALU_DEP_2)
	v_fmac_f16_e32 v87, v4, v94
	v_mul_f16_e64 v4, v4, v242
	v_add_f16_e32 v104, v87, v19
	s_delay_alu instid0(VALU_DEP_2) | instskip(NEXT) | instid1(VALU_DEP_1)
	v_fma_f16 v4, v225, v94, -v4
	v_add_f16_e32 v92, v4, v8
	v_add_f16_e64 v103, v167, v4
	v_sub_f16_e32 v4, v4, v8
	s_delay_alu instid0(VALU_DEP_3) | instskip(SKIP_4) | instid1(VALU_DEP_4)
	v_fmac_f16_e64 v167, -0.5, v92
	v_add_f16_e32 v92, v93, v87
	v_sub_f16_e32 v87, v87, v19
	v_fmac_f16_e32 v93, -0.5, v104
	v_mov_b32_e32 v104, v5
	v_add_f16_e32 v19, v92, v19
	v_add_f16_e32 v92, v103, v8
	s_delay_alu instid0(VALU_DEP_1) | instskip(SKIP_4) | instid1(VALU_DEP_3)
	v_pack_b32_f16 v8, v92, v19
	v_fma_f16 v19, 0x3aee, v87, v167
	v_fmamk_f16 v92, v4, 0xbaee, v93
	v_fmac_f16_e64 v167, 0xbaee, v87
	v_fmac_f16_e32 v93, 0x3aee, v4
	v_pack_b32_f16 v19, v19, v92
	v_add_nc_u32_e32 v92, 0x4fa0, v5
	v_lshrrev_b32_e32 v5, 16, v226
	s_delay_alu instid0(VALU_DEP_4)
	v_pack_b32_f16 v4, v167, v93
	scratch_store_b32 off, v92, off offset:372 ; 4-byte Folded Spill
	ds_store_2addr_b32 v92, v8, v19 offset0:7 offset1:250
	v_mul_f16_e64 v19, v226, v244
	v_mul_f16_e64 v8, v5, v244
	v_lshrrev_b32_e32 v92, 16, v86
	s_delay_alu instid0(VALU_DEP_3) | instskip(SKIP_1) | instid1(VALU_DEP_4)
	v_fmac_f16_e32 v19, v5, v96
	v_lshrrev_b32_e32 v5, 16, v13
	v_fma_f16 v8, v226, v96, -v8
	s_delay_alu instid0(VALU_DEP_2) | instskip(NEXT) | instid1(VALU_DEP_2)
	v_mul_f16_e64 v87, v5, v243
	v_add_f16_e32 v93, v86, v8
	s_delay_alu instid0(VALU_DEP_2) | instskip(SKIP_1) | instid1(VALU_DEP_1)
	v_fma_f16 v87, v13, v97, -v87
	v_mul_f16_e64 v13, v13, v243
	v_fmac_f16_e32 v13, v5, v97
	s_delay_alu instid0(VALU_DEP_3) | instskip(SKIP_1) | instid1(VALU_DEP_3)
	v_add_f16_e32 v5, v8, v87
	v_sub_f16_e32 v8, v8, v87
	v_add_f16_e32 v103, v19, v13
	s_delay_alu instid0(VALU_DEP_3) | instskip(SKIP_2) | instid1(VALU_DEP_4)
	v_fmac_f16_e32 v86, -0.5, v5
	v_add_f16_e32 v5, v92, v19
	v_sub_f16_e32 v19, v19, v13
	v_fmac_f16_e32 v92, -0.5, v103
	v_lshlrev_b32_e32 v103, 3, v84
	s_delay_alu instid0(VALU_DEP_4)
	v_add_f16_e32 v5, v5, v13
	v_add_f16_e32 v13, v93, v87
	v_add_nc_u32_e32 v93, 0x5b00, v6
	v_fmamk_f16 v87, v8, 0xbaee, v92
	v_fmac_f16_e32 v92, 0x3aee, v8
	scratch_store_b32 off, v23, off offset:384 ; 4-byte Folded Spill
	v_pack_b32_f16 v5, v13, v5
	v_fmamk_f16 v13, v19, 0x3aee, v86
	v_fmac_f16_e32 v86, 0xbaee, v19
	scratch_store_b32 off, v93, off offset:380 ; 4-byte Folded Spill
	v_pack_b32_f16 v13, v13, v87
	v_mov_b32_e32 v87, v6
	v_pack_b32_f16 v6, v17, v18
	s_clause 0x3
	scratch_store_b32 off, v104, off offset:392
	scratch_store_b32 off, v21, off offset:400
	;; [unrolled: 1-line block ×4, first 2 shown]
	ds_store_2addr_b32 v93, v5, v13 offset0:8 offset1:251
	v_pack_b32_f16 v5, v86, v92
	ds_store_b32 v20, v1 offset:7776
	ds_store_b32 v21, v0 offset:10692
	;; [unrolled: 1-line block ×7, first 2 shown]
	v_lshlrev_b32_e32 v104, 3, v85
	s_waitcnt lgkmcnt(0)
	s_waitcnt_vscnt null, 0x0
	s_barrier
	buffer_gl0_inv
	ds_load_2addr_b32 v[105:106], v187 offset0:6 offset1:249
	s_clause 0x2
	global_load_b64 v[84:85], v102, s[6:7] offset:2904
	global_load_b64 v[86:87], v104, s[6:7] offset:2904
	;; [unrolled: 1-line block ×3, first 2 shown]
	v_mul_u32_u24_e32 v6, 0x6799, v101
	v_mov_b32_e32 v21, v174
	ds_load_2addr_b32 v[116:117], v122 offset1:243
	ds_load_2addr_b32 v[118:119], v179 offset0:6 offset1:249
	v_mov_b32_e32 v22, v145
	v_lshrrev_b32_e32 v6, 16, v6
	v_add_nc_u32_e32 v23, 0x5ec0, v122
	s_delay_alu instid0(VALU_DEP_2) | instskip(NEXT) | instid1(VALU_DEP_1)
	v_sub_nc_u16 v7, v114, v6
	v_lshrrev_b16 v7, 1, v7
	s_waitcnt lgkmcnt(2)
	v_lshrrev_b32_e32 v0, 16, v105
	v_lshrrev_b32_e32 v2, 16, v106
	s_delay_alu instid0(VALU_DEP_3) | instskip(SKIP_2) | instid1(VALU_DEP_2)
	v_add_nc_u16 v6, v7, v6
	s_waitcnt lgkmcnt(1)
	v_lshrrev_b32_e32 v8, 16, v116
	v_lshrrev_b16 v6, 9, v6
	s_delay_alu instid0(VALU_DEP_1) | instskip(NEXT) | instid1(VALU_DEP_1)
	v_mul_lo_u16 v6, 0x2d9, v6
	v_sub_nc_u16 v6, v114, v6
	s_waitcnt vmcnt(2)
	v_lshrrev_b32_e32 v154, 16, v85
	s_waitcnt vmcnt(1)
	v_lshrrev_b32_e32 v153, 16, v87
	v_lshrrev_b32_e32 v219, 16, v84
	;; [unrolled: 1-line block ×3, first 2 shown]
	s_waitcnt vmcnt(0)
	v_lshrrev_b32_e32 v232, 16, v92
	v_mul_f16_e64 v4, v105, v154
	v_mul_f16_e64 v1, v0, v154
	;; [unrolled: 1-line block ×4, first 2 shown]
	v_lshrrev_b32_e32 v231, 16, v93
	v_fmac_f16_e32 v4, v0, v85
	v_mul_u32_u24_e32 v0, 0x6799, v100
	ds_load_2addr_b32 v[100:101], v188 offset0:8 offset1:251
	v_fmac_f16_e32 v5, v2, v87
	v_fma_f16 v1, v105, v85, -v1
	v_fma_f16 v3, v106, v87, -v3
	v_lshrrev_b32_e32 v0, 16, v0
	s_delay_alu instid0(VALU_DEP_1) | instskip(NEXT) | instid1(VALU_DEP_1)
	v_sub_nc_u16 v2, v112, v0
	v_lshrrev_b16 v2, 1, v2
	s_delay_alu instid0(VALU_DEP_1) | instskip(SKIP_3) | instid1(VALU_DEP_3)
	v_add_nc_u16 v0, v2, v0
	s_waitcnt lgkmcnt(0)
	v_lshrrev_b32_e32 v2, 16, v101
	v_mul_f16_e64 v7, v101, v219
	v_lshrrev_b16 v0, 9, v0
	s_delay_alu instid0(VALU_DEP_2) | instskip(SKIP_1) | instid1(VALU_DEP_3)
	v_fmac_f16_e32 v7, v2, v84
	v_mul_f16_e64 v2, v2, v219
	v_mul_lo_u16 v0, 0x2d9, v0
	s_delay_alu instid0(VALU_DEP_3) | instskip(NEXT) | instid1(VALU_DEP_3)
	v_add_f16_e32 v9, v7, v4
	v_fma_f16 v2, v101, v84, -v2
	v_add_f16_e32 v10, v8, v7
	v_sub_f16_e32 v7, v7, v4
	v_sub_nc_u16 v0, v112, v0
	v_fmac_f16_e32 v8, -0.5, v9
	v_add_f16_e32 v9, v116, v2
	v_add_f16_e32 v11, v2, v1
	;; [unrolled: 1-line block ×3, first 2 shown]
	s_delay_alu instid0(VALU_DEP_3) | instskip(SKIP_1) | instid1(VALU_DEP_4)
	v_add_f16_e32 v9, v9, v1
	v_sub_f16_e32 v1, v2, v1
	v_fma_f16 v2, -0.5, v11, v116
	s_delay_alu instid0(VALU_DEP_3) | instskip(SKIP_1) | instid1(VALU_DEP_3)
	v_pack_b32_f16 v4, v9, v4
	v_mul_f16_e64 v9, v118, v156
	v_fmamk_f16 v11, v7, 0x3aee, v2
	v_fmac_f16_e32 v2, 0xbaee, v7
	v_fmamk_f16 v7, v1, 0xbaee, v8
	v_fmac_f16_e32 v8, 0x3aee, v1
	v_mul_u32_u24_e32 v1, 0x6799, v99
	s_delay_alu instid0(VALU_DEP_3) | instskip(NEXT) | instid1(VALU_DEP_3)
	v_pack_b32_f16 v7, v11, v7
	v_pack_b32_f16 v2, v2, v8
	s_delay_alu instid0(VALU_DEP_3) | instskip(SKIP_2) | instid1(VALU_DEP_3)
	v_lshrrev_b32_e32 v1, 16, v1
	v_lshrrev_b32_e32 v8, 16, v118
	;; [unrolled: 1-line block ×3, first 2 shown]
	v_sub_nc_u16 v10, v141, v1
	s_delay_alu instid0(VALU_DEP_3) | instskip(SKIP_1) | instid1(VALU_DEP_3)
	v_fmac_f16_e32 v9, v8, v86
	v_mul_f16_e64 v8, v8, v156
	v_lshrrev_b16 v10, 1, v10
	s_delay_alu instid0(VALU_DEP_3) | instskip(NEXT) | instid1(VALU_DEP_3)
	v_add_f16_e32 v12, v11, v9
	v_fma_f16 v8, v118, v86, -v8
	s_delay_alu instid0(VALU_DEP_3) | instskip(NEXT) | instid1(VALU_DEP_3)
	v_add_nc_u16 v1, v10, v1
	v_add_f16_e32 v12, v12, v5
	s_delay_alu instid0(VALU_DEP_3) | instskip(NEXT) | instid1(VALU_DEP_3)
	v_add_f16_e32 v10, v117, v8
	v_lshrrev_b16 v1, 9, v1
	s_delay_alu instid0(VALU_DEP_2) | instskip(NEXT) | instid1(VALU_DEP_2)
	v_add_f16_e32 v10, v10, v3
	v_mul_lo_u16 v1, 0x2d9, v1
	s_delay_alu instid0(VALU_DEP_2) | instskip(SKIP_2) | instid1(VALU_DEP_4)
	v_pack_b32_f16 v10, v10, v12
	v_lshlrev_b16 v12, 3, v6
	v_and_b32_e32 v6, 0xffff, v6
	v_sub_nc_u16 v1, v141, v1
	s_delay_alu instid0(VALU_DEP_3) | instskip(NEXT) | instid1(VALU_DEP_3)
	v_and_b32_e32 v12, 0xffff, v12
	v_lshlrev_b32_e32 v215, 2, v6
	s_delay_alu instid0(VALU_DEP_3) | instskip(SKIP_1) | instid1(VALU_DEP_4)
	v_lshlrev_b16 v13, 3, v1
	v_and_b32_e32 v1, 0xffff, v1
	v_add_co_u32 v105, s2, s6, v12
	v_lshlrev_b16 v12, 3, v0
	s_delay_alu instid0(VALU_DEP_4) | instskip(SKIP_2) | instid1(VALU_DEP_4)
	v_and_b32_e32 v13, 0xffff, v13
	v_add_co_ci_u32_e64 v106, null, s7, 0, s2
	v_and_b32_e32 v0, 0xffff, v0
	v_and_b32_e32 v12, 0xffff, v12
	s_delay_alu instid0(VALU_DEP_1) | instskip(NEXT) | instid1(VALU_DEP_1)
	v_add_co_u32 v108, s2, s6, v12
	v_add_co_ci_u32_e64 v109, null, s7, 0, s2
	v_add_co_u32 v110, s2, s6, v13
	s_delay_alu instid0(VALU_DEP_1)
	v_add_co_ci_u32_e64 v111, null, s7, 0, s2
	s_clause 0x2
	global_load_b64 v[106:107], v[105:106], off offset:2904
	global_load_b64 v[108:109], v[108:109], off offset:2904
	;; [unrolled: 1-line block ×3, first 2 shown]
	ds_load_b32 v12, v122 offset:25272
	ds_load_2addr_b32 v[164:165], v176 offset0:6 offset1:249
	ds_load_2addr_b32 v[166:167], v181 offset0:12 offset1:255
	;; [unrolled: 1-line block ×8, first 2 shown]
	ds_load_2addr_b32 v[247:248], v171 offset1:243
	s_waitcnt vmcnt(0) lgkmcnt(0)
	s_barrier
	buffer_gl0_inv
	ds_store_b32 v122, v7 offset:2916
	ds_store_b32 v122, v2 offset:5832
	ds_store_2addr_b32 v122, v4, v10 offset1:243
	v_add_f16_e32 v2, v8, v3
	v_sub_f16_e32 v4, v9, v5
	s_delay_alu instid0(VALU_DEP_2) | instskip(SKIP_4) | instid1(VALU_DEP_4)
	v_fmac_f16_e32 v117, -0.5, v2
	v_add_f16_e32 v2, v9, v5
	v_lshrrev_b32_e32 v5, 16, v119
	v_mul_f16_e64 v9, v166, v231
	v_lshrrev_b32_e32 v10, 16, v164
	v_fmac_f16_e32 v11, -0.5, v2
	v_sub_f16_e32 v2, v8, v3
	v_mul_f16_e64 v8, v119, v232
	v_mul_f16_e64 v7, v5, v232
	v_fmamk_f16 v3, v4, 0x3aee, v117
	v_fmac_f16_e32 v117, 0xbaee, v4
	v_fmamk_f16 v4, v2, 0xbaee, v11
	v_fmac_f16_e32 v8, v5, v92
	v_lshrrev_b32_e32 v5, 16, v166
	v_fmac_f16_e32 v11, 0x3aee, v2
	v_fma_f16 v7, v119, v92, -v7
	v_pack_b32_f16 v3, v3, v4
	v_lshrrev_b32_e32 v18, 16, v253
	v_fmac_f16_e32 v9, v5, v93
	v_mul_f16_e64 v5, v5, v231
	v_pack_b32_f16 v2, v117, v11
	v_add_f16_e32 v11, v10, v8
	v_lshrrev_b32_e32 v101, 16, v250
	v_add_f16_e32 v13, v8, v9
	v_fma_f16 v5, v166, v93, -v5
	v_sub_f16_e32 v8, v8, v9
	v_add_f16_e32 v9, v11, v9
	v_add_f16_e64 v11, v164, v7
	v_fmac_f16_e32 v10, -0.5, v13
	v_add_f16_e32 v13, v7, v5
	s_delay_alu instid0(VALU_DEP_3) | instskip(SKIP_1) | instid1(VALU_DEP_3)
	v_add_f16_e32 v11, v11, v5
	v_sub_f16_e32 v5, v7, v5
	v_fma_f16 v7, -0.5, v13, v164
	s_delay_alu instid0(VALU_DEP_3) | instskip(NEXT) | instid1(VALU_DEP_3)
	v_pack_b32_f16 v4, v11, v9
	v_fmamk_f16 v11, v5, 0xbaee, v10
	s_delay_alu instid0(VALU_DEP_3) | instskip(SKIP_3) | instid1(VALU_DEP_4)
	v_fmamk_f16 v9, v8, 0x3aee, v7
	v_fmac_f16_e32 v7, 0xbaee, v8
	v_fmac_f16_e32 v10, 0x3aee, v5
	v_lshrrev_b32_e32 v5, 16, v211
	v_pack_b32_f16 v9, v9, v11
	ds_store_b32 v122, v2 offset:6804
	ds_store_b32 v122, v4 offset:1944
	ds_store_2addr_b32 v159, v3, v9 offset0:12 offset1:255
	v_lshrrev_b32_e32 v2, 16, v167
	v_mul_f16_e64 v4, v167, v154
	v_lshrrev_b32_e32 v9, 16, v165
	s_delay_alu instid0(VALU_DEP_3) | instskip(NEXT) | instid1(VALU_DEP_3)
	v_mul_f16_e64 v3, v2, v154
	v_fmac_f16_e32 v4, v2, v85
	v_pack_b32_f16 v2, v7, v10
	v_mul_f16_e64 v7, v211, v219
	s_delay_alu instid0(VALU_DEP_4) | instskip(NEXT) | instid1(VALU_DEP_2)
	v_fma_f16 v3, v167, v85, -v3
	v_fmac_f16_e32 v7, v5, v84
	v_mul_f16_e64 v5, v5, v219
	s_delay_alu instid0(VALU_DEP_2) | instskip(NEXT) | instid1(VALU_DEP_2)
	v_add_f16_e32 v10, v9, v7
	v_fma_f16 v5, v211, v84, -v5
	v_lshlrev_b32_e32 v211, 2, v0
	s_delay_alu instid0(VALU_DEP_3) | instskip(NEXT) | instid1(VALU_DEP_3)
	v_add_f16_e32 v10, v10, v4
	v_add_f16_e64 v8, v165, v5
	s_delay_alu instid0(VALU_DEP_1) | instskip(NEXT) | instid1(VALU_DEP_1)
	v_add_f16_e32 v8, v8, v3
	v_pack_b32_f16 v8, v8, v10
	v_lshrrev_b32_e32 v10, 16, v225
	ds_store_2addr_b32 v188, v2, v8 offset0:8 offset1:251
	v_add_f16_e32 v2, v5, v3
	v_mul_f16_e64 v8, v212, v156
	s_delay_alu instid0(VALU_DEP_2) | instskip(SKIP_2) | instid1(VALU_DEP_2)
	v_fmac_f16_e64 v165, -0.5, v2
	v_add_f16_e32 v2, v7, v4
	v_sub_f16_e32 v4, v7, v4
	v_fmac_f16_e32 v9, -0.5, v2
	v_sub_f16_e32 v2, v5, v3
	v_lshrrev_b32_e32 v5, 16, v212
	s_delay_alu instid0(VALU_DEP_4) | instskip(SKIP_1) | instid1(VALU_DEP_4)
	v_fma_f16 v3, 0x3aee, v4, v165
	v_fmac_f16_e64 v165, 0xbaee, v4
	v_fmamk_f16 v4, v2, 0xbaee, v9
	v_fmac_f16_e32 v9, 0x3aee, v2
	v_mul_f16_e64 v7, v5, v156
	v_fmac_f16_e32 v8, v5, v86
	v_lshrrev_b32_e32 v5, 16, v235
	v_pack_b32_f16 v3, v3, v4
	v_pack_b32_f16 v2, v165, v9
	v_mul_f16_e64 v9, v235, v153
	v_fma_f16 v7, v212, v86, -v7
	v_mul_f16_e64 v4, v5, v153
	v_add_f16_e32 v13, v10, v8
	v_lshlrev_b32_e32 v212, 2, v1
	v_fmac_f16_e32 v9, v5, v87
	s_delay_alu instid0(VALU_DEP_4) | instskip(NEXT) | instid1(VALU_DEP_2)
	v_fma_f16 v4, v235, v87, -v4
	v_add_f16_e32 v11, v8, v9
	v_sub_f16_e32 v8, v8, v9
	s_delay_alu instid0(VALU_DEP_3) | instskip(NEXT) | instid1(VALU_DEP_3)
	v_add_f16_e32 v5, v7, v4
	v_fmac_f16_e32 v10, -0.5, v11
	v_sub_f16_e32 v11, v7, v4
	s_delay_alu instid0(VALU_DEP_3) | instskip(SKIP_1) | instid1(VALU_DEP_3)
	v_fma_f16 v5, -0.5, v5, v225
	v_add_f16_e64 v7, v225, v7
	v_fmamk_f16 v15, v11, 0xbaee, v10
	s_delay_alu instid0(VALU_DEP_3) | instskip(NEXT) | instid1(VALU_DEP_3)
	v_fmamk_f16 v14, v8, 0x3aee, v5
	v_add_f16_e32 v4, v7, v4
	v_add_f16_e32 v7, v13, v9
	v_lshrrev_b32_e32 v13, 16, v226
	v_fmac_f16_e32 v5, 0xbaee, v8
	v_pack_b32_f16 v14, v14, v15
	v_mul_f16_e64 v15, v236, v231
	v_fmac_f16_e32 v10, 0x3aee, v11
	v_lshrrev_b32_e32 v8, 16, v100
	ds_store_2addr_b32 v163, v3, v14 offset0:4 offset1:247
	v_lshrrev_b32_e32 v3, 16, v236
	s_delay_alu instid0(VALU_DEP_1)
	v_mul_f16_e64 v14, v3, v231
	v_fmac_f16_e32 v15, v3, v93
	v_pack_b32_f16 v3, v4, v7
	v_lshrrev_b32_e32 v4, 16, v239
	v_mul_f16_e64 v7, v239, v232
	v_fma_f16 v14, v236, v93, -v14
	s_delay_alu instid0(VALU_DEP_2) | instskip(SKIP_1) | instid1(VALU_DEP_2)
	v_fmac_f16_e32 v7, v4, v92
	v_mul_f16_e64 v4, v4, v232
	v_add_f16_e32 v16, v13, v7
	s_delay_alu instid0(VALU_DEP_2) | instskip(NEXT) | instid1(VALU_DEP_2)
	v_fma_f16 v4, v239, v92, -v4
	v_add_f16_e32 v16, v16, v15
	s_delay_alu instid0(VALU_DEP_2) | instskip(NEXT) | instid1(VALU_DEP_1)
	v_add_f16_e64 v9, v226, v4
	v_add_f16_e32 v9, v9, v14
	s_delay_alu instid0(VALU_DEP_1) | instskip(SKIP_3) | instid1(VALU_DEP_1)
	v_pack_b32_f16 v9, v9, v16
	v_lshrrev_b32_e32 v16, 16, v252
	ds_store_2addr_b32 v179, v3, v9 offset0:6 offset1:249
	v_add_f16_e32 v3, v4, v14
	v_fmac_f16_e64 v226, -0.5, v3
	v_add_f16_e32 v3, v7, v15
	v_sub_f16_e32 v7, v7, v15
	s_delay_alu instid0(VALU_DEP_2) | instskip(SKIP_1) | instid1(VALU_DEP_3)
	v_fmac_f16_e32 v13, -0.5, v3
	v_sub_f16_e32 v3, v4, v14
	v_fma_f16 v4, 0x3aee, v7, v226
	v_fmac_f16_e64 v226, 0xbaee, v7
	s_delay_alu instid0(VALU_DEP_3) | instskip(SKIP_2) | instid1(VALU_DEP_3)
	v_fmamk_f16 v9, v3, 0xbaee, v13
	v_fmac_f16_e32 v13, 0x3aee, v3
	v_pack_b32_f16 v3, v5, v10
	v_pack_b32_f16 v4, v4, v9
	ds_store_2addr_b32 v149, v4, v2 offset0:10 offset1:253
	v_pack_b32_f16 v2, v226, v13
	v_lshrrev_b32_e32 v13, 16, v247
	ds_store_2addr_b32 v171, v3, v2 offset1:243
	v_lshrrev_b32_e32 v2, 16, v12
	v_lshrrev_b32_e32 v246, 16, v106
	;; [unrolled: 1-line block ×5, first 2 shown]
	s_delay_alu instid0(VALU_DEP_3) | instskip(NEXT) | instid1(VALU_DEP_3)
	v_mul_f16_e64 v19, v18, v249
	v_mul_f16_e64 v4, v12, v245
	v_mul_f16_e64 v3, v2, v245
	s_delay_alu instid0(VALU_DEP_4) | instskip(NEXT) | instid1(VALU_DEP_4)
	v_mul_f16_e64 v5, v248, v164
	v_fma_f16 v19, v253, v109, -v19
	s_delay_alu instid0(VALU_DEP_4) | instskip(SKIP_3) | instid1(VALU_DEP_3)
	v_fmac_f16_e32 v4, v2, v111
	v_lshrrev_b32_e32 v2, 16, v248
	v_fma_f16 v3, v12, v111, -v3
	v_mul_f16_e64 v12, v240, v246
	v_fmac_f16_e32 v5, v2, v110
	v_mul_f16_e64 v2, v2, v164
	s_delay_alu instid0(VALU_DEP_1) | instskip(SKIP_1) | instid1(VALU_DEP_2)
	v_fma_f16 v2, v248, v110, -v2
	v_lshrrev_b32_e32 v248, 16, v108
	v_add_f16_e32 v7, v2, v3
	v_add_f16_e32 v9, v100, v2
	v_sub_f16_e32 v2, v2, v3
	s_delay_alu instid0(VALU_DEP_4)
	v_mul_f16_e64 v14, v13, v248
	v_mul_f16_e64 v15, v247, v248
	v_fmac_f16_e32 v100, -0.5, v7
	v_sub_f16_e32 v7, v5, v4
	v_add_f16_e32 v3, v9, v3
	v_fma_f16 v14, v247, v108, -v14
	v_lshrrev_b32_e32 v247, 16, v107
	v_fmac_f16_e32 v15, v13, v108
	v_fmamk_f16 v10, v7, 0x3aee, v100
	v_fmac_f16_e32 v100, 0xbaee, v7
	v_add_f16_e32 v7, v5, v4
	v_add_f16_e32 v5, v8, v5
	v_mul_f16_e64 v99, v252, v247
	v_mul_f16_e64 v17, v16, v247
	v_lshrrev_b32_e32 v13, 16, v251
	v_fmac_f16_e32 v8, -0.5, v7
	v_add_f16_e32 v4, v5, v4
	v_fmac_f16_e32 v99, v16, v107
	v_add_f16_e64 v16, v251, v14
	v_fma_f16 v17, v252, v107, -v17
	v_fmamk_f16 v7, v2, 0xbaee, v8
	v_fmac_f16_e32 v8, 0x3aee, v2
	v_pack_b32_f16 v0, v3, v4
	s_delay_alu instid0(VALU_DEP_3) | instskip(NEXT) | instid1(VALU_DEP_3)
	v_pack_b32_f16 v3, v10, v7
	v_pack_b32_f16 v2, v100, v8
	v_lshrrev_b32_e32 v8, 16, v240
	v_mul_f16_e64 v100, v253, v249
	s_delay_alu instid0(VALU_DEP_2) | instskip(SKIP_1) | instid1(VALU_DEP_3)
	v_mul_f16_e64 v11, v8, v246
	v_fmac_f16_e32 v12, v8, v106
	v_fmac_f16_e32 v100, v18, v109
	v_add_f16_e32 v8, v14, v19
	s_delay_alu instid0(VALU_DEP_4) | instskip(NEXT) | instid1(VALU_DEP_4)
	v_fma_f16 v11, v240, v106, -v11
	v_add_f16_e32 v116, v12, v99
	v_add_f16_e32 v117, v101, v12
	s_delay_alu instid0(VALU_DEP_4) | instskip(SKIP_4) | instid1(VALU_DEP_4)
	v_fmac_f16_e64 v251, -0.5, v8
	v_sub_f16_e32 v8, v15, v100
	v_add_f16_e64 v105, v250, v11
	v_sub_f16_e32 v12, v12, v99
	v_fmac_f16_e32 v101, -0.5, v116
	v_fma_f16 v18, 0x3aee, v8, v251
	v_fmac_f16_e64 v251, 0xbaee, v8
	v_add_f16_e32 v8, v15, v100
	v_add_f16_e32 v15, v13, v15
	v_add_f16_e32 v105, v105, v17
	s_delay_alu instid0(VALU_DEP_3) | instskip(SKIP_1) | instid1(VALU_DEP_4)
	v_fmac_f16_e32 v13, -0.5, v8
	v_sub_f16_e32 v8, v14, v19
	v_add_f16_e32 v15, v15, v100
	s_delay_alu instid0(VALU_DEP_2) | instskip(SKIP_3) | instid1(VALU_DEP_4)
	v_fmamk_f16 v14, v8, 0xbaee, v13
	v_fmac_f16_e32 v13, 0x3aee, v8
	v_add_f16_e32 v8, v11, v17
	v_sub_f16_e32 v11, v11, v17
	v_pack_b32_f16 v6, v18, v14
	s_delay_alu instid0(VALU_DEP_4) | instskip(NEXT) | instid1(VALU_DEP_4)
	v_pack_b32_f16 v13, v251, v13
	v_fma_f16 v8, -0.5, v8, v250
	s_delay_alu instid0(VALU_DEP_1)
	v_fmamk_f16 v17, v12, 0x3aee, v8
	v_fmac_f16_e32 v8, 0xbaee, v12
	v_add_f16_e32 v12, v117, v99
	v_fmamk_f16 v99, v11, 0xbaee, v101
	v_fmac_f16_e32 v101, 0x3aee, v11
	v_add_f16_e32 v11, v16, v19
	s_delay_alu instid0(VALU_DEP_4) | instskip(NEXT) | instid1(VALU_DEP_4)
	v_pack_b32_f16 v5, v105, v12
	v_pack_b32_f16 v9, v17, v99
	s_delay_alu instid0(VALU_DEP_4)
	v_pack_b32_f16 v8, v8, v101
	ds_store_b32 v215, v5 offset:17496
	ds_store_b32 v215, v9 offset:20412
	;; [unrolled: 1-line block ×3, first 2 shown]
	v_pack_b32_f16 v5, v11, v15
	ds_store_b32 v211, v5 offset:17496
	ds_store_b32 v211, v6 offset:20412
	;; [unrolled: 1-line block ×6, first 2 shown]
	v_add_co_u32 v0, s2, s6, v102
	s_delay_alu instid0(VALU_DEP_1) | instskip(SKIP_1) | instid1(VALU_DEP_2)
	v_add_co_ci_u32_e64 v1, null, s7, 0, s2
	s_waitcnt lgkmcnt(0)
	v_add_co_u32 v99, vcc_lo, 0x2000, v0
	v_add_co_u32 v0, s2, s6, v104
	s_delay_alu instid0(VALU_DEP_3) | instskip(SKIP_1) | instid1(VALU_DEP_3)
	v_add_co_ci_u32_e32 v100, vcc_lo, 0, v1, vcc_lo
	v_add_co_ci_u32_e64 v1, null, s7, 0, s2
	v_add_co_u32 v101, vcc_lo, 0x2000, v0
	v_add_co_u32 v0, s2, s6, v103
	s_delay_alu instid0(VALU_DEP_3) | instskip(SKIP_1) | instid1(VALU_DEP_3)
	v_add_co_ci_u32_e32 v102, vcc_lo, 0, v1, vcc_lo
	v_add_co_ci_u32_e64 v1, null, s7, 0, s2
	v_add_co_u32 v103, vcc_lo, 0x2000, v0
	v_lshlrev_b32_e32 v0, 3, v98
	s_delay_alu instid0(VALU_DEP_3) | instskip(SKIP_3) | instid1(VALU_DEP_1)
	v_add_co_ci_u32_e32 v104, vcc_lo, 0, v1, vcc_lo
	s_barrier
	buffer_gl0_inv
	v_add_co_u32 v0, s2, s6, v0
	v_add_co_ci_u32_e64 v1, null, s7, 0, s2
	s_delay_alu instid0(VALU_DEP_2) | instskip(NEXT) | instid1(VALU_DEP_2)
	v_add_co_u32 v116, vcc_lo, 0x2000, v0
	v_add_co_ci_u32_e32 v117, vcc_lo, 0, v1, vcc_lo
	s_clause 0x3
	global_load_b64 v[98:99], v[99:100], off offset:544
	global_load_b64 v[100:101], v[101:102], off offset:544
	;; [unrolled: 1-line block ×4, first 2 shown]
	ds_load_2addr_b32 v[116:117], v187 offset0:6 offset1:249
	s_waitcnt lgkmcnt(0)
	v_lshrrev_b32_e32 v4, 16, v117
	v_lshrrev_b32_e32 v0, 16, v116
	s_waitcnt vmcnt(3)
	v_lshrrev_b32_e32 v225, 16, v99
	s_waitcnt vmcnt(2)
	v_lshrrev_b32_e32 v227, 16, v101
	v_lshrrev_b32_e32 v226, 16, v98
	;; [unrolled: 1-line block ×3, first 2 shown]
	s_waitcnt vmcnt(1)
	v_lshrrev_b32_e32 v235, 16, v102
	v_mul_f16_e64 v1, v116, v225
	v_mul_f16_e64 v2, v4, v227
	v_mul_f16_e64 v12, v117, v227
	v_lshrrev_b32_e32 v236, 16, v103
	s_delay_alu instid0(VALU_DEP_4) | instskip(NEXT) | instid1(VALU_DEP_4)
	v_fmac_f16_e32 v1, v0, v99
	v_fma_f16 v11, v117, v101, -v2
	ds_load_2addr_b32 v[2:3], v188 offset0:8 offset1:251
	v_mul_f16_e64 v0, v0, v225
	v_fmac_f16_e32 v12, v4, v101
	s_delay_alu instid0(VALU_DEP_2) | instskip(SKIP_4) | instid1(VALU_DEP_1)
	v_fma_f16 v0, v116, v99, -v0
	ds_load_2addr_b32 v[116:117], v122 offset1:243
	s_waitcnt lgkmcnt(1)
	v_lshrrev_b32_e32 v5, 16, v3
	v_mul_f16_e64 v6, v3, v226
	v_fmac_f16_e32 v6, v5, v98
	v_mul_f16_e64 v5, v5, v226
	s_waitcnt lgkmcnt(0)
	v_lshrrev_b32_e32 v14, 16, v117
	s_delay_alu instid0(VALU_DEP_3) | instskip(NEXT) | instid1(VALU_DEP_3)
	v_sub_f16_e32 v7, v6, v1
	v_fma_f16 v3, v3, v98, -v5
	v_add_f16_e32 v9, v6, v1
	s_delay_alu instid0(VALU_DEP_2) | instskip(NEXT) | instid1(VALU_DEP_1)
	v_add_f16_e32 v5, v3, v0
	v_fma_f16 v5, -0.5, v5, v116
	s_delay_alu instid0(VALU_DEP_1) | instskip(SKIP_2) | instid1(VALU_DEP_1)
	v_fmamk_f16 v8, v7, 0x3aee, v5
	v_fmac_f16_e32 v5, 0xbaee, v7
	v_lshrrev_b32_e32 v7, 16, v116
	v_add_f16_e32 v6, v7, v6
	v_fmac_f16_e32 v7, -0.5, v9
	v_sub_f16_e32 v9, v3, v0
	v_add_f16_e32 v3, v116, v3
	s_delay_alu instid0(VALU_DEP_4) | instskip(NEXT) | instid1(VALU_DEP_3)
	v_add_f16_e32 v1, v6, v1
	v_fmamk_f16 v10, v9, 0xbaee, v7
	v_fmac_f16_e32 v7, 0x3aee, v9
	s_delay_alu instid0(VALU_DEP_4) | instskip(NEXT) | instid1(VALU_DEP_3)
	v_add_f16_e32 v0, v3, v0
	v_pack_b32_f16 v3, v8, v10
	s_delay_alu instid0(VALU_DEP_3)
	v_pack_b32_f16 v5, v5, v7
	ds_store_b32 v122, v3 offset:8748
	ds_store_b32 v122, v5 offset:17496
	ds_load_2addr_b32 v[118:119], v179 offset0:6 offset1:249
	v_pack_b32_f16 v0, v0, v1
	s_waitcnt lgkmcnt(0)
	v_lshrrev_b32_e32 v1, 16, v118
	v_mul_f16_e64 v13, v118, v230
	s_delay_alu instid0(VALU_DEP_1) | instskip(SKIP_1) | instid1(VALU_DEP_2)
	v_fmac_f16_e32 v13, v1, v100
	v_mul_f16_e64 v1, v1, v230
	v_add_f16_e32 v4, v14, v13
	s_delay_alu instid0(VALU_DEP_2) | instskip(NEXT) | instid1(VALU_DEP_2)
	v_fma_f16 v1, v118, v100, -v1
	v_add_f16_e32 v4, v4, v12
	s_delay_alu instid0(VALU_DEP_2) | instskip(NEXT) | instid1(VALU_DEP_1)
	v_add_f16_e32 v3, v117, v1
	v_add_f16_e32 v3, v3, v11
	s_delay_alu instid0(VALU_DEP_1)
	v_pack_b32_f16 v15, v3, v4
	ds_load_b32 v16, v122 offset:25272
	ds_load_2addr_b32 v[165:166], v176 offset0:6 offset1:249
	ds_load_2addr_b32 v[239:240], v181 offset0:12 offset1:255
	;; [unrolled: 1-line block ×8, first 2 shown]
	ds_load_2addr_b32 v[9:10], v171 offset1:243
	ds_store_2addr_b32 v122, v0, v15 offset1:243
	v_add_f16_e32 v0, v1, v11
	s_delay_alu instid0(VALU_DEP_1)
	v_fmac_f16_e32 v117, -0.5, v0
	v_add_f16_e32 v0, v13, v12
	v_sub_f16_e32 v12, v13, v12
	s_waitcnt lgkmcnt(8)
	v_mul_f16_e64 v15, v239, v236
	v_lshrrev_b32_e32 v17, 16, v165
	v_fmac_f16_e32 v14, -0.5, v0
	v_sub_f16_e32 v0, v1, v11
	v_fmamk_f16 v1, v12, 0x3aee, v117
	v_fmac_f16_e32 v117, 0xbaee, v12
	v_lshrrev_b32_e32 v12, 16, v119
	s_delay_alu instid0(VALU_DEP_4) | instskip(SKIP_1) | instid1(VALU_DEP_3)
	v_fmamk_f16 v11, v0, 0xbaee, v14
	v_fmac_f16_e32 v14, 0x3aee, v0
	v_mul_f16_e64 v13, v12, v235
	s_delay_alu instid0(VALU_DEP_3) | instskip(NEXT) | instid1(VALU_DEP_3)
	v_pack_b32_f16 v1, v1, v11
	v_pack_b32_f16 v0, v117, v14
	v_mul_f16_e64 v14, v119, v235
	s_delay_alu instid0(VALU_DEP_4) | instskip(NEXT) | instid1(VALU_DEP_2)
	v_fma_f16 v13, v119, v102, -v13
	v_fmac_f16_e32 v14, v12, v102
	v_lshrrev_b32_e32 v12, 16, v239
	s_delay_alu instid0(VALU_DEP_2) | instskip(NEXT) | instid1(VALU_DEP_2)
	v_add_f16_e32 v19, v17, v14
	v_mul_f16_e64 v11, v12, v236
	v_fmac_f16_e32 v15, v12, v103
	s_delay_alu instid0(VALU_DEP_2) | instskip(NEXT) | instid1(VALU_DEP_2)
	v_fma_f16 v11, v239, v103, -v11
	v_add_f16_e32 v18, v14, v15
	v_sub_f16_e32 v14, v14, v15
	s_waitcnt vmcnt(0)
	v_lshrrev_b32_e32 v239, 16, v105
	v_add_f16_e32 v12, v13, v11
	v_fmac_f16_e32 v17, -0.5, v18
	v_sub_f16_e32 v18, v13, v11
	v_add_f16_e64 v13, v165, v13
	s_delay_alu instid0(VALU_DEP_4) | instskip(NEXT) | instid1(VALU_DEP_3)
	v_fma_f16 v12, -0.5, v12, v165
	v_fmamk_f16 v117, v18, 0xbaee, v17
	v_fmac_f16_e32 v17, 0x3aee, v18
	s_delay_alu instid0(VALU_DEP_4) | instskip(NEXT) | instid1(VALU_DEP_4)
	v_add_f16_e32 v11, v13, v11
	v_fmamk_f16 v116, v14, 0x3aee, v12
	v_fmac_f16_e32 v12, 0xbaee, v14
	v_add_f16_e32 v13, v19, v15
	v_lshrrev_b32_e32 v15, 16, v166
	s_delay_alu instid0(VALU_DEP_4)
	v_pack_b32_f16 v116, v116, v117
	ds_store_2addr_b32 v179, v1, v116 offset0:6 offset1:249
	v_pack_b32_f16 v1, v12, v17
	v_mul_f16_e64 v12, v240, v239
	ds_store_2addr_b32 v145, v0, v1 offset0:9 offset1:252
	v_lshrrev_b32_e32 v0, 16, v240
	s_delay_alu instid0(VALU_DEP_1)
	v_mul_f16_e64 v1, v0, v239
	v_fmac_f16_e32 v12, v0, v105
	v_pack_b32_f16 v0, v11, v13
	s_waitcnt lgkmcnt(9)
	v_lshrrev_b32_e32 v11, 16, v250
	v_fma_f16 v1, v240, v105, -v1
	v_lshrrev_b32_e32 v240, 16, v104
	s_delay_alu instid0(VALU_DEP_1) | instskip(NEXT) | instid1(VALU_DEP_1)
	v_mul_f16_e64 v13, v250, v240
	v_fmac_f16_e32 v13, v11, v104
	v_mul_f16_e64 v11, v11, v240
	s_delay_alu instid0(VALU_DEP_2) | instskip(NEXT) | instid1(VALU_DEP_2)
	v_add_f16_e32 v17, v15, v13
	v_fma_f16 v11, v250, v104, -v11
	s_delay_alu instid0(VALU_DEP_2) | instskip(NEXT) | instid1(VALU_DEP_2)
	v_add_f16_e32 v17, v17, v12
	v_add_f16_e64 v14, v166, v11
	s_delay_alu instid0(VALU_DEP_1) | instskip(NEXT) | instid1(VALU_DEP_1)
	v_add_f16_e32 v14, v14, v1
	v_pack_b32_f16 v14, v14, v17
	s_waitcnt lgkmcnt(8)
	v_lshrrev_b32_e32 v17, 16, v252
	ds_store_2addr_b32 v176, v0, v14 offset0:6 offset1:249
	v_add_f16_e32 v0, v11, v1
	s_delay_alu instid0(VALU_DEP_1) | instskip(SKIP_2) | instid1(VALU_DEP_2)
	v_fmac_f16_e64 v166, -0.5, v0
	v_add_f16_e32 v0, v13, v12
	v_sub_f16_e32 v12, v13, v12
	v_fmac_f16_e32 v15, -0.5, v0
	v_sub_f16_e32 v0, v11, v1
	s_delay_alu instid0(VALU_DEP_3) | instskip(SKIP_1) | instid1(VALU_DEP_3)
	v_fma_f16 v11, 0x3aee, v12, v166
	v_fmac_f16_e64 v166, 0xbaee, v12
	v_fmamk_f16 v12, v0, 0xbaee, v15
	v_fmac_f16_e32 v15, 0x3aee, v0
	v_lshlrev_b32_e32 v0, 3, v115
	s_delay_alu instid0(VALU_DEP_3) | instskip(NEXT) | instid1(VALU_DEP_3)
	v_pack_b32_f16 v11, v11, v12
	v_pack_b32_f16 v13, v166, v15
	s_delay_alu instid0(VALU_DEP_3) | instskip(NEXT) | instid1(VALU_DEP_1)
	v_add_co_u32 v0, s2, s6, v0
	v_add_co_ci_u32_e64 v1, null, s7, 0, s2
	s_delay_alu instid0(VALU_DEP_2) | instskip(SKIP_1) | instid1(VALU_DEP_3)
	v_add_co_u32 v115, vcc_lo, 0x2000, v0
	v_lshlrev_b32_e32 v0, 3, v113
	v_add_co_ci_u32_e32 v116, vcc_lo, 0, v1, vcc_lo
	s_delay_alu instid0(VALU_DEP_2) | instskip(NEXT) | instid1(VALU_DEP_1)
	v_add_co_u32 v0, s2, s6, v0
	v_add_co_ci_u32_e64 v1, null, s7, 0, s2
	s_delay_alu instid0(VALU_DEP_2) | instskip(SKIP_1) | instid1(VALU_DEP_3)
	v_add_co_u32 v117, vcc_lo, 0x2000, v0
	v_lshlrev_b32_e32 v0, 3, v114
	v_add_co_ci_u32_e32 v118, vcc_lo, 0, v1, vcc_lo
	s_delay_alu instid0(VALU_DEP_2) | instskip(NEXT) | instid1(VALU_DEP_1)
	;; [unrolled: 7-line block ×3, first 2 shown]
	v_add_co_u32 v0, s2, s6, v0
	v_add_co_ci_u32_e64 v1, null, s7, 0, s2
	s_delay_alu instid0(VALU_DEP_2) | instskip(NEXT) | instid1(VALU_DEP_2)
	v_add_co_u32 v0, vcc_lo, 0x2000, v0
	v_add_co_ci_u32_e32 v1, vcc_lo, 0, v1, vcc_lo
	s_clause 0x3
	global_load_b64 v[112:113], v[115:116], off offset:544
	global_load_b64 v[114:115], v[117:118], off offset:544
	;; [unrolled: 1-line block ×4, first 2 shown]
	v_lshrrev_b32_e32 v0, 16, v251
	s_waitcnt vmcnt(3)
	v_lshrrev_b32_e32 v165, 16, v112
	v_lshrrev_b32_e32 v250, 16, v113
	s_waitcnt vmcnt(2)
	v_lshrrev_b32_e32 v166, 16, v115
	s_waitcnt vmcnt(0)
	v_lshrrev_b32_e32 v167, 16, v118
	v_mul_f16_e64 v14, v251, v165
	v_mul_f16_e64 v1, v0, v165
	s_waitcnt lgkmcnt(8)
	v_mul_f16_e64 v15, v3, v250
	s_delay_alu instid0(VALU_DEP_3) | instskip(SKIP_3) | instid1(VALU_DEP_4)
	v_fmac_f16_e32 v14, v0, v112
	v_lshrrev_b32_e32 v0, 16, v3
	v_fma_f16 v1, v251, v112, -v1
	v_lshrrev_b32_e32 v251, 16, v114
	v_add_f16_e32 v19, v17, v14
	s_delay_alu instid0(VALU_DEP_4) | instskip(SKIP_1) | instid1(VALU_DEP_2)
	v_fmac_f16_e32 v15, v0, v113
	v_mul_f16_e64 v0, v0, v250
	v_add_f16_e32 v18, v14, v15
	s_delay_alu instid0(VALU_DEP_2) | instskip(SKIP_1) | instid1(VALU_DEP_3)
	v_fma_f16 v0, v3, v113, -v0
	v_sub_f16_e32 v12, v14, v15
	v_fmac_f16_e32 v17, -0.5, v18
	s_delay_alu instid0(VALU_DEP_3) | instskip(SKIP_2) | instid1(VALU_DEP_3)
	v_add_f16_e32 v3, v1, v0
	v_sub_f16_e32 v14, v1, v0
	v_add_f16_e64 v1, v252, v1
	v_fma_f16 v3, -0.5, v3, v252
	s_delay_alu instid0(VALU_DEP_3) | instskip(SKIP_1) | instid1(VALU_DEP_4)
	v_fma_f16 v145, 0xbaee, v14, v17
	v_fmac_f16_e32 v17, 0x3aee, v14
	v_add_f16_e32 v0, v1, v0
	v_add_f16_e32 v1, v19, v15
	v_fmamk_f16 v18, v12, 0x3aee, v3
	v_fmac_f16_e32 v3, 0xbaee, v12
	v_lshrrev_b32_e32 v12, 16, v253
	v_lshrrev_b32_e32 v252, 16, v116
	v_pack_b32_f16 v0, v0, v1
	v_pack_b32_f16 v18, v18, v145
	;; [unrolled: 1-line block ×3, first 2 shown]
	s_waitcnt lgkmcnt(7)
	v_lshrrev_b32_e32 v1, 16, v5
	ds_store_2addr_b32 v163, v11, v18 offset0:4 offset1:247
	ds_store_2addr_b32 v254, v13, v3 offset0:7 offset1:250
	v_lshrrev_b32_e32 v3, 16, v4
	v_lshrrev_b32_e32 v254, 16, v119
	s_delay_alu instid0(VALU_DEP_2) | instskip(NEXT) | instid1(VALU_DEP_1)
	v_mul_f16_e64 v11, v3, v166
	v_fma_f16 v11, v4, v115, -v11
	v_mul_f16_e64 v4, v4, v166
	s_delay_alu instid0(VALU_DEP_1) | instskip(SKIP_1) | instid1(VALU_DEP_1)
	v_fmac_f16_e32 v4, v3, v115
	v_mul_f16_e64 v3, v5, v251
	v_fmac_f16_e32 v3, v1, v114
	v_mul_f16_e64 v1, v1, v251
	s_delay_alu instid0(VALU_DEP_2) | instskip(NEXT) | instid1(VALU_DEP_2)
	v_add_f16_e32 v13, v12, v3
	v_fma_f16 v1, v5, v114, -v1
	s_delay_alu instid0(VALU_DEP_2) | instskip(NEXT) | instid1(VALU_DEP_2)
	v_add_f16_e32 v13, v13, v4
	v_add_f16_e64 v5, v253, v1
	s_delay_alu instid0(VALU_DEP_1) | instskip(NEXT) | instid1(VALU_DEP_1)
	v_add_f16_e32 v5, v5, v11
	v_pack_b32_f16 v5, v5, v13
	ds_store_2addr_b32 v159, v0, v5 offset0:12 offset1:255
	v_add_f16_e32 v0, v1, v11
	s_delay_alu instid0(VALU_DEP_1) | instskip(SKIP_3) | instid1(VALU_DEP_3)
	v_fmac_f16_e64 v253, -0.5, v0
	v_add_f16_e32 v0, v3, v4
	v_sub_f16_e32 v3, v3, v4
	v_lshrrev_b32_e32 v4, 16, v6
	v_fmac_f16_e32 v12, -0.5, v0
	v_sub_f16_e32 v0, v1, v11
	s_delay_alu instid0(VALU_DEP_3) | instskip(SKIP_2) | instid1(VALU_DEP_4)
	v_mul_f16_e64 v5, v4, v252
	v_fma_f16 v1, 0x3aee, v3, v253
	v_fmac_f16_e64 v253, 0xbaee, v3
	v_fmamk_f16 v3, v0, 0xbaee, v12
	v_fmac_f16_e32 v12, 0x3aee, v0
	v_fma_f16 v5, v6, v116, -v5
	v_mul_f16_e64 v6, v6, v252
	s_delay_alu instid0(VALU_DEP_4) | instskip(NEXT) | instid1(VALU_DEP_4)
	v_pack_b32_f16 v1, v1, v3
	v_pack_b32_f16 v0, v253, v12
	v_lshrrev_b32_e32 v253, 16, v117
	s_delay_alu instid0(VALU_DEP_4) | instskip(SKIP_4) | instid1(VALU_DEP_3)
	v_fmac_f16_e32 v6, v4, v116
	s_waitcnt lgkmcnt(8)
	v_lshrrev_b32_e32 v4, 16, v7
	v_lshrrev_b32_e32 v12, 16, v120
	v_mul_f16_e64 v11, v7, v253
	v_mul_f16_e64 v3, v4, v253
	s_delay_alu instid0(VALU_DEP_3) | instskip(NEXT) | instid1(VALU_DEP_3)
	v_add_f16_e32 v14, v12, v6
	v_fmac_f16_e32 v11, v4, v117
	s_delay_alu instid0(VALU_DEP_3) | instskip(NEXT) | instid1(VALU_DEP_2)
	v_fma_f16 v3, v7, v117, -v3
	v_add_f16_e32 v13, v6, v11
	v_sub_f16_e32 v6, v6, v11
	s_delay_alu instid0(VALU_DEP_3) | instskip(SKIP_3) | instid1(VALU_DEP_4)
	v_add_f16_e32 v4, v5, v3
	v_sub_f16_e32 v7, v5, v3
	v_add_f16_e32 v5, v120, v5
	v_fmac_f16_e32 v12, -0.5, v13
	v_fma_f16 v4, -0.5, v4, v120
	s_delay_alu instid0(VALU_DEP_3) | instskip(NEXT) | instid1(VALU_DEP_3)
	v_add_f16_e32 v3, v5, v3
	v_fmamk_f16 v15, v7, 0xbaee, v12
	v_fmac_f16_e32 v12, 0x3aee, v7
	s_delay_alu instid0(VALU_DEP_4) | instskip(SKIP_3) | instid1(VALU_DEP_4)
	v_fmamk_f16 v13, v6, 0x3aee, v4
	v_fmac_f16_e32 v4, 0xbaee, v6
	v_add_f16_e32 v5, v14, v11
	v_lshrrev_b32_e32 v7, 16, v121
	v_pack_b32_f16 v13, v13, v15
	ds_store_2addr_b32 v149, v1, v13 offset0:10 offset1:253
	v_pack_b32_f16 v1, v4, v12
	v_mul_f16_e64 v4, v8, v254
	ds_store_2addr_b32 v174, v0, v1 offset0:5 offset1:248
	v_lshrrev_b32_e32 v0, 16, v8
	s_delay_alu instid0(VALU_DEP_1)
	v_mul_f16_e64 v1, v0, v254
	v_fmac_f16_e32 v4, v0, v119
	v_pack_b32_f16 v0, v3, v5
	s_waitcnt lgkmcnt(9)
	v_lshrrev_b32_e32 v3, 16, v9
	v_mul_f16_e64 v5, v9, v167
	v_fma_f16 v1, v8, v119, -v1
	s_delay_alu instid0(VALU_DEP_2) | instskip(SKIP_1) | instid1(VALU_DEP_2)
	v_fmac_f16_e32 v5, v3, v118
	v_mul_f16_e64 v3, v3, v167
	v_add_f16_e32 v8, v7, v5
	s_delay_alu instid0(VALU_DEP_2) | instskip(SKIP_1) | instid1(VALU_DEP_3)
	v_fma_f16 v3, v9, v118, -v3
	v_lshrrev_b32_e32 v9, 16, v2
	v_add_f16_e32 v8, v8, v4
	s_delay_alu instid0(VALU_DEP_3) | instskip(NEXT) | instid1(VALU_DEP_1)
	v_add_f16_e32 v6, v121, v3
	v_add_f16_e32 v6, v6, v1
	s_delay_alu instid0(VALU_DEP_1) | instskip(SKIP_2) | instid1(VALU_DEP_1)
	v_pack_b32_f16 v6, v6, v8
	ds_store_2addr_b32 v144, v0, v6 offset0:2 offset1:245
	v_add_f16_e32 v0, v3, v1
	v_fmac_f16_e32 v121, -0.5, v0
	v_add_f16_e32 v0, v5, v4
	v_sub_f16_e32 v4, v5, v4
	s_delay_alu instid0(VALU_DEP_2) | instskip(SKIP_1) | instid1(VALU_DEP_3)
	v_fmac_f16_e32 v7, -0.5, v0
	v_sub_f16_e32 v0, v3, v1
	v_fmamk_f16 v3, v4, 0x3aee, v121
	v_fmac_f16_e32 v121, 0xbaee, v4
	s_delay_alu instid0(VALU_DEP_3) | instskip(SKIP_2) | instid1(VALU_DEP_2)
	v_fmamk_f16 v4, v0, 0xbaee, v7
	v_fmac_f16_e32 v7, 0x3aee, v0
	v_lshlrev_b32_e32 v0, 3, v141
	v_pack_b32_f16 v5, v121, v7
	s_delay_alu instid0(VALU_DEP_2) | instskip(NEXT) | instid1(VALU_DEP_1)
	v_add_co_u32 v0, s2, s6, v0
	v_add_co_ci_u32_e64 v1, null, s7, 0, s2
	s_mul_hi_u32 s7, s8, 0x222c
	s_delay_alu instid0(VALU_DEP_2) | instskip(NEXT) | instid1(VALU_DEP_2)
	v_add_co_u32 v0, vcc_lo, 0x2000, v0
	v_add_co_ci_u32_e32 v1, vcc_lo, 0, v1, vcc_lo
	global_load_b64 v[120:121], v[0:1], off offset:544
	v_lshrrev_b32_e32 v0, 16, v10
	s_waitcnt vmcnt(0)
	v_lshrrev_b32_e32 v141, 16, v120
	v_lshrrev_b32_e32 v145, 16, v121
	s_delay_alu instid0(VALU_DEP_2) | instskip(SKIP_1) | instid1(VALU_DEP_3)
	v_mul_f16_e64 v6, v10, v141
	v_mul_f16_e64 v1, v0, v141
	;; [unrolled: 1-line block ×3, first 2 shown]
	s_delay_alu instid0(VALU_DEP_3) | instskip(SKIP_1) | instid1(VALU_DEP_4)
	v_fmac_f16_e32 v6, v0, v120
	v_lshrrev_b32_e32 v0, 16, v16
	v_fma_f16 v1, v10, v120, -v1
	s_delay_alu instid0(VALU_DEP_2) | instskip(SKIP_1) | instid1(VALU_DEP_3)
	v_mul_f16_e64 v7, v0, v145
	v_fmac_f16_e32 v8, v0, v121
	v_add_f16_e32 v10, v2, v1
	s_delay_alu instid0(VALU_DEP_3) | instskip(NEXT) | instid1(VALU_DEP_1)
	v_fma_f16 v7, v16, v121, -v7
	v_add_f16_e32 v0, v1, v7
	s_delay_alu instid0(VALU_DEP_1) | instskip(SKIP_1) | instid1(VALU_DEP_1)
	v_fmac_f16_e32 v2, -0.5, v0
	v_sub_f16_e32 v0, v6, v8
	v_fmamk_f16 v11, v0, 0x3aee, v2
	v_fmac_f16_e32 v2, 0xbaee, v0
	v_add_f16_e32 v0, v6, v8
	v_add_f16_e32 v6, v9, v6
	s_delay_alu instid0(VALU_DEP_2) | instskip(SKIP_1) | instid1(VALU_DEP_1)
	v_fmac_f16_e32 v9, -0.5, v0
	v_sub_f16_e32 v0, v1, v7
	v_fmamk_f16 v1, v0, 0xbaee, v9
	v_fmac_f16_e32 v9, 0x3aee, v0
	s_delay_alu instid0(VALU_DEP_2) | instskip(NEXT) | instid1(VALU_DEP_2)
	v_pack_b32_f16 v1, v11, v1
	v_pack_b32_f16 v0, v2, v9
	;; [unrolled: 1-line block ×3, first 2 shown]
	ds_store_2addr_b32 v23, v5, v0 offset0:11 offset1:254
	ds_store_2addr_b32 v171, v2, v1 offset1:243
	v_add_f16_e32 v0, v10, v7
	v_add_f16_e32 v1, v6, v8
	s_delay_alu instid0(VALU_DEP_1)
	v_pack_b32_f16 v0, v0, v1
	ds_store_b32 v122, v0 offset:7776
	s_waitcnt lgkmcnt(0)
	s_barrier
	buffer_gl0_inv
	global_load_b32 v2, v[137:138], off offset:1668
	v_add_co_u32 v0, vcc_lo, 0x6684, v193
	v_add_co_ci_u32_e32 v1, vcc_lo, 0, v194, vcc_lo
	s_clause 0x3
	global_load_b32 v12, v[0:1], off offset:972
	global_load_b32 v8, v[0:1], off offset:1944
	;; [unrolled: 1-line block ×4, first 2 shown]
	v_add_co_u32 v0, vcc_lo, 0x8000, v193
	v_add_co_ci_u32_e32 v1, vcc_lo, 0, v194, vcc_lo
	s_clause 0x3
	global_load_b32 v4, v[0:1], off offset:2224
	global_load_b32 v11, v[0:1], off offset:3196
	;; [unrolled: 1-line block ×4, first 2 shown]
	ds_load_2addr_b32 v[0:1], v122 offset1:243
	s_waitcnt lgkmcnt(0)
	v_lshrrev_b32_e32 v5, 16, v0
	s_waitcnt vmcnt(8)
	v_lshrrev_b32_e32 v3, 16, v2
	s_delay_alu instid0(VALU_DEP_1) | instskip(NEXT) | instid1(VALU_DEP_3)
	v_mul_f16_e32 v6, v0, v3
	v_mul_f16_e32 v3, v5, v3
	s_delay_alu instid0(VALU_DEP_2) | instskip(NEXT) | instid1(VALU_DEP_2)
	v_fmac_f16_e32 v6, v5, v2
	v_fma_f16 v0, v0, v2, -v3
	s_waitcnt vmcnt(2)
	v_lshrrev_b32_e32 v138, 16, v11
	s_delay_alu instid0(VALU_DEP_2)
	v_pack_b32_f16 v0, v0, v6
	ds_store_b32 v122, v0
	ds_load_2addr_b32 v[2:3], v188 offset0:8 offset1:251
	v_lshrrev_b32_e32 v0, 16, v4
	s_waitcnt lgkmcnt(0)
	v_lshrrev_b32_e32 v5, 16, v3
	s_delay_alu instid0(VALU_DEP_2) | instskip(NEXT) | instid1(VALU_DEP_2)
	v_mul_f16_e32 v14, v3, v0
	v_mul_f16_e32 v0, v5, v0
	s_delay_alu instid0(VALU_DEP_2) | instskip(NEXT) | instid1(VALU_DEP_2)
	v_fmac_f16_e32 v14, v5, v4
	v_fma_f16 v7, v3, v4, -v0
	v_add_co_u32 v3, vcc_lo, 0x9000, v193
	v_add_co_ci_u32_e32 v4, vcc_lo, 0, v194, vcc_lo
	v_add_co_u32 v5, vcc_lo, 0xa000, v193
	v_add_co_ci_u32_e32 v6, vcc_lo, 0, v194, vcc_lo
	s_clause 0x5
	global_load_b32 v15, v[3:4], off offset:1044
	global_load_b32 v16, v[3:4], off offset:2016
	;; [unrolled: 1-line block ×6, first 2 shown]
	ds_load_2addr_b32 v[5:6], v179 offset0:6 offset1:249
	v_pack_b32_f16 v7, v7, v14
	s_waitcnt lgkmcnt(0)
	v_lshrrev_b32_e32 v174, 16, v5
	v_mul_f16_e64 v0, v5, v138
	s_delay_alu instid0(VALU_DEP_2) | instskip(NEXT) | instid1(VALU_DEP_2)
	v_mul_f16_e64 v138, v174, v138
	v_fmac_f16_e64 v0, v174, v11
	s_delay_alu instid0(VALU_DEP_2) | instskip(SKIP_1) | instid1(VALU_DEP_2)
	v_fma_f16 v5, v5, v11, -v138
	v_lshrrev_b32_e32 v11, 16, v8
	v_pack_b32_f16 v0, v5, v0
	v_add_nc_u32_e32 v5, 0x2200, v122
	ds_store_2addr_b32 v5, v7, v0 offset0:11 offset1:254
	v_lshrrev_b32_e32 v0, 16, v1
	v_lshrrev_b32_e32 v5, 16, v12
	s_delay_alu instid0(VALU_DEP_1) | instskip(SKIP_1) | instid1(VALU_DEP_2)
	v_mul_f16_e32 v7, v0, v5
	v_mul_f16_e32 v5, v1, v5
	v_fma_f16 v7, v1, v12, -v7
	s_delay_alu instid0(VALU_DEP_2)
	v_fmac_f16_e32 v5, v0, v12
	ds_load_2addr_b32 v[0:1], v176 offset0:6 offset1:249
	v_pack_b32_f16 v5, v7, v5
	v_add_nc_u32_e32 v7, 0x3c0, v122
	s_waitcnt lgkmcnt(0)
	v_lshrrev_b32_e32 v12, 16, v0
	v_mul_f16_e32 v14, v0, v11
	s_delay_alu instid0(VALU_DEP_2) | instskip(NEXT) | instid1(VALU_DEP_2)
	v_mul_f16_e32 v11, v12, v11
	v_fmac_f16_e32 v14, v12, v8
	s_delay_alu instid0(VALU_DEP_2) | instskip(NEXT) | instid1(VALU_DEP_1)
	v_fma_f16 v0, v0, v8, -v11
	v_pack_b32_f16 v0, v0, v14
	ds_store_2addr_b32 v7, v5, v0 offset0:3 offset1:246
	global_load_b32 v0, v[3:4], off offset:72
	v_lshrrev_b32_e32 v5, 16, v6
	s_waitcnt vmcnt(0)
	v_lshrrev_b32_e32 v7, 16, v0
	s_delay_alu instid0(VALU_DEP_1) | instskip(SKIP_1) | instid1(VALU_DEP_2)
	v_mul_f16_e32 v8, v5, v7
	v_mul_f16_e32 v7, v6, v7
	v_fma_f16 v8, v6, v0, -v8
	s_delay_alu instid0(VALU_DEP_2) | instskip(SKIP_4) | instid1(VALU_DEP_2)
	v_fmac_f16_e32 v7, v5, v0
	ds_load_2addr_b32 v[5:6], v163 offset0:4 offset1:247
	v_lshrrev_b32_e32 v0, 16, v15
	s_waitcnt lgkmcnt(0)
	v_lshrrev_b32_e32 v11, 16, v5
	v_mul_f16_e32 v12, v5, v0
	s_delay_alu instid0(VALU_DEP_2) | instskip(NEXT) | instid1(VALU_DEP_2)
	v_mul_f16_e32 v0, v11, v0
	v_fmac_f16_e32 v12, v11, v15
	s_delay_alu instid0(VALU_DEP_2) | instskip(SKIP_3) | instid1(VALU_DEP_4)
	v_fma_f16 v0, v5, v15, -v0
	v_pack_b32_f16 v5, v8, v7
	v_add_nc_u32_e32 v7, 0x29c0, v122
	v_lshrrev_b32_e32 v8, 16, v10
	v_pack_b32_f16 v0, v0, v12
	ds_store_2addr_b32 v7, v5, v0 offset0:1 offset1:244
	v_lshrrev_b32_e32 v0, 16, v1
	v_lshrrev_b32_e32 v5, 16, v9
	s_delay_alu instid0(VALU_DEP_1) | instskip(SKIP_1) | instid1(VALU_DEP_2)
	v_mul_f16_e32 v7, v0, v5
	v_mul_f16_e32 v5, v1, v5
	v_fma_f16 v7, v1, v9, -v7
	s_delay_alu instid0(VALU_DEP_2)
	v_fmac_f16_e32 v5, v0, v9
	ds_load_2addr_b32 v[0:1], v159 offset0:12 offset1:255
	v_pack_b32_f16 v5, v7, v5
	v_add_nc_u32_e32 v7, 0xb40, v122
	s_waitcnt lgkmcnt(0)
	v_lshrrev_b32_e32 v9, 16, v0
	v_mul_f16_e32 v11, v0, v8
	s_delay_alu instid0(VALU_DEP_2) | instskip(NEXT) | instid1(VALU_DEP_2)
	v_mul_f16_e32 v8, v9, v8
	v_fmac_f16_e32 v11, v9, v10
	s_delay_alu instid0(VALU_DEP_2) | instskip(NEXT) | instid1(VALU_DEP_1)
	v_fma_f16 v0, v0, v10, -v8
	v_pack_b32_f16 v0, v0, v11
	ds_store_2addr_b32 v7, v5, v0 offset0:9 offset1:252
	v_lshrrev_b32_e32 v5, 16, v16
	v_lshrrev_b32_e32 v0, 16, v6
	s_delay_alu instid0(VALU_DEP_2) | instskip(NEXT) | instid1(VALU_DEP_2)
	v_mul_f16_e32 v8, v6, v5
	v_mul_f16_e32 v7, v0, v5
	s_delay_alu instid0(VALU_DEP_2)
	v_fmac_f16_e32 v8, v0, v16
	s_clause 0x1
	global_load_b32 v0, v[3:4], off offset:2988
	global_load_b32 v9, v[3:4], off offset:3960
	v_add_co_u32 v3, vcc_lo, 0x7000, v193
	v_add_co_ci_u32_e32 v4, vcc_lo, 0, v194, vcc_lo
	v_add_co_u32 v5, vcc_lo, 0xb000, v193
	v_fma_f16 v7, v6, v16, -v7
	v_add_co_ci_u32_e32 v6, vcc_lo, 0, v194, vcc_lo
	s_clause 0x4
	global_load_b32 v10, v[3:4], off offset:3404
	global_load_b32 v11, v[5:6], off offset:628
	;; [unrolled: 1-line block ×5, first 2 shown]
	ds_load_2addr_b32 v[5:6], v149 offset0:10 offset1:253
	s_waitcnt lgkmcnt(0)
	v_lshrrev_b32_e32 v138, 16, v5
	s_waitcnt vmcnt(6)
	v_lshrrev_b32_e32 v16, 16, v0
	s_delay_alu instid0(VALU_DEP_1) | instskip(NEXT) | instid1(VALU_DEP_3)
	v_mul_f16_e64 v174, v5, v16
	v_mul_f16_e64 v16, v138, v16
	s_delay_alu instid0(VALU_DEP_2) | instskip(NEXT) | instid1(VALU_DEP_2)
	v_fmac_f16_e64 v174, v138, v0
	v_fma_f16 v0, v5, v0, -v16
	v_pack_b32_f16 v5, v7, v8
	v_add_nc_u32_e32 v7, 0x3140, v122
	s_delay_alu instid0(VALU_DEP_3)
	v_pack_b32_f16 v0, v0, v174
	ds_store_2addr_b32 v7, v5, v0 offset0:7 offset1:250
	global_load_b32 v0, v[3:4], off offset:2432
	v_lshrrev_b32_e32 v3, 16, v1
	s_waitcnt vmcnt(0)
	v_lshrrev_b32_e32 v4, 16, v0
	s_delay_alu instid0(VALU_DEP_1) | instskip(SKIP_1) | instid1(VALU_DEP_2)
	v_mul_f16_e32 v5, v3, v4
	v_mul_f16_e32 v4, v1, v4
	v_fma_f16 v5, v1, v0, -v5
	s_delay_alu instid0(VALU_DEP_2) | instskip(SKIP_4) | instid1(VALU_DEP_2)
	v_fmac_f16_e32 v4, v3, v0
	ds_load_2addr_b32 v[0:1], v144 offset0:2 offset1:245
	v_lshrrev_b32_e32 v3, 16, v10
	s_waitcnt lgkmcnt(0)
	v_lshrrev_b32_e32 v7, 16, v0
	v_mul_f16_e32 v8, v0, v3
	s_delay_alu instid0(VALU_DEP_2) | instskip(NEXT) | instid1(VALU_DEP_2)
	v_mul_f16_e32 v3, v7, v3
	v_fmac_f16_e32 v8, v7, v10
	s_delay_alu instid0(VALU_DEP_2) | instskip(SKIP_2) | instid1(VALU_DEP_3)
	v_fma_f16 v0, v0, v10, -v3
	v_pack_b32_f16 v3, v5, v4
	v_add_nc_u32_e32 v4, 0x12e0, v122
	v_pack_b32_f16 v0, v0, v8
	ds_store_2addr_b32 v4, v3, v0 offset0:7 offset1:250
	v_lshrrev_b32_e32 v0, 16, v6
	v_lshrrev_b32_e32 v3, 16, v9
	s_delay_alu instid0(VALU_DEP_1) | instskip(SKIP_1) | instid1(VALU_DEP_2)
	v_mul_f16_e32 v4, v0, v3
	v_mul_f16_e32 v5, v6, v3
	v_fma_f16 v6, v6, v9, -v4
	ds_load_2addr_b32 v[3:4], v171 offset1:243
	v_fmac_f16_e32 v5, v0, v9
	v_lshrrev_b32_e32 v0, 16, v17
	s_waitcnt lgkmcnt(0)
	v_lshrrev_b32_e32 v7, 16, v3
	s_delay_alu instid0(VALU_DEP_2) | instskip(NEXT) | instid1(VALU_DEP_2)
	v_mul_f16_e32 v8, v3, v0
	v_mul_f16_e32 v0, v7, v0
	s_delay_alu instid0(VALU_DEP_2) | instskip(NEXT) | instid1(VALU_DEP_2)
	v_fmac_f16_e32 v8, v7, v17
	v_fma_f16 v0, v3, v17, -v0
	v_pack_b32_f16 v3, v6, v5
	v_add_nc_u32_e32 v5, 0x38e0, v122
	s_delay_alu instid0(VALU_DEP_3) | instskip(SKIP_3) | instid1(VALU_DEP_1)
	v_pack_b32_f16 v0, v0, v8
	ds_store_2addr_b32 v5, v3, v0 offset0:5 offset1:248
	v_lshrrev_b32_e32 v0, 16, v1
	v_lshrrev_b32_e32 v3, 16, v20
	v_mul_f16_e32 v5, v0, v3
	v_mul_f16_e32 v3, v1, v3
	s_delay_alu instid0(VALU_DEP_2) | instskip(NEXT) | instid1(VALU_DEP_2)
	v_fma_f16 v1, v1, v20, -v5
	v_fmac_f16_e32 v3, v0, v20
	v_lshrrev_b32_e32 v0, 16, v2
	v_lshrrev_b32_e32 v5, 16, v13
	s_delay_alu instid0(VALU_DEP_1) | instskip(SKIP_1) | instid1(VALU_DEP_2)
	v_mul_f16_e32 v6, v0, v5
	v_mul_f16_e32 v5, v2, v5
	v_fma_f16 v2, v2, v13, -v6
	s_delay_alu instid0(VALU_DEP_2) | instskip(SKIP_1) | instid1(VALU_DEP_2)
	v_fmac_f16_e32 v5, v0, v13
	v_pack_b32_f16 v0, v1, v3
	v_pack_b32_f16 v1, v2, v5
	v_add_nc_u32_e32 v2, 0x1a80, v122
	ds_store_2addr_b32 v2, v0, v1 offset0:5 offset1:248
	v_lshrrev_b32_e32 v1, 16, v18
	v_lshrrev_b32_e32 v0, 16, v4
	s_delay_alu instid0(VALU_DEP_2) | instskip(NEXT) | instid1(VALU_DEP_2)
	v_mul_f16_e32 v3, v4, v1
	v_mul_f16_e32 v2, v0, v1
	s_delay_alu instid0(VALU_DEP_2) | instskip(SKIP_3) | instid1(VALU_DEP_2)
	v_fmac_f16_e32 v3, v0, v18
	ds_load_2addr_b32 v[0:1], v187 offset0:6 offset1:249
	v_fma_f16 v2, v4, v18, -v2
	v_lshrrev_b32_e32 v4, 16, v19
	v_pack_b32_f16 v2, v2, v3
	v_add_nc_u32_e32 v3, 0x4080, v122
	s_waitcnt lgkmcnt(0)
	v_lshrrev_b32_e32 v5, 16, v0
	v_mul_f16_e32 v6, v0, v4
	s_delay_alu instid0(VALU_DEP_2) | instskip(NEXT) | instid1(VALU_DEP_2)
	v_mul_f16_e32 v4, v5, v4
	v_fmac_f16_e32 v6, v5, v19
	s_delay_alu instid0(VALU_DEP_2) | instskip(SKIP_1) | instid1(VALU_DEP_2)
	v_fma_f16 v0, v0, v19, -v4
	v_lshrrev_b32_e32 v4, 16, v11
	v_pack_b32_f16 v0, v0, v6
	ds_store_2addr_b32 v3, v2, v0 offset0:3 offset1:246
	v_lshrrev_b32_e32 v0, 16, v1
	v_lshrrev_b32_e32 v2, 16, v137
	s_delay_alu instid0(VALU_DEP_1) | instskip(SKIP_1) | instid1(VALU_DEP_2)
	v_mul_f16_e32 v3, v0, v2
	v_mul_f16_e32 v2, v1, v2
	v_fma_f16 v3, v1, v137, -v3
	s_delay_alu instid0(VALU_DEP_2)
	v_fmac_f16_e64 v2, v0, v137
	ds_load_2addr_b32 v[0:1], v181 offset0:12 offset1:255
	v_pack_b32_f16 v2, v3, v2
	s_waitcnt lgkmcnt(0)
	v_lshrrev_b32_e32 v5, 16, v0
	v_mul_f16_e32 v6, v0, v4
	s_delay_alu instid0(VALU_DEP_2) | instskip(NEXT) | instid1(VALU_DEP_2)
	v_mul_f16_e32 v4, v5, v4
	v_fmac_f16_e32 v6, v5, v11
	s_delay_alu instid0(VALU_DEP_2) | instskip(SKIP_1) | instid1(VALU_DEP_2)
	v_fma_f16 v0, v0, v11, -v4
	v_lshrrev_b32_e32 v4, 16, v14
	v_pack_b32_f16 v0, v0, v6
	ds_store_2addr_b32 v22, v2, v0 offset0:9 offset1:252
	v_lshrrev_b32_e32 v0, 16, v1
	v_lshrrev_b32_e32 v2, 16, v12
	s_delay_alu instid0(VALU_DEP_1) | instskip(SKIP_1) | instid1(VALU_DEP_2)
	v_mul_f16_e32 v3, v0, v2
	v_mul_f16_e32 v2, v1, v2
	v_fma_f16 v3, v1, v12, -v3
	s_delay_alu instid0(VALU_DEP_2)
	v_fmac_f16_e32 v2, v0, v12
	ds_load_2addr_b32 v[0:1], v161 offset0:2 offset1:245
	v_pack_b32_f16 v2, v3, v2
	s_waitcnt lgkmcnt(0)
	v_lshrrev_b32_e32 v5, 16, v0
	v_mul_f16_e32 v6, v0, v4
	s_delay_alu instid0(VALU_DEP_2) | instskip(NEXT) | instid1(VALU_DEP_2)
	v_mul_f16_e32 v4, v5, v4
	v_fmac_f16_e32 v6, v5, v14
	s_delay_alu instid0(VALU_DEP_2) | instskip(NEXT) | instid1(VALU_DEP_1)
	v_fma_f16 v0, v0, v14, -v4
	v_pack_b32_f16 v0, v0, v6
	ds_store_2addr_b32 v255, v2, v0 offset0:7 offset1:250
	v_lshrrev_b32_e32 v0, 16, v1
	v_lshrrev_b32_e32 v2, 16, v15
	s_delay_alu instid0(VALU_DEP_1) | instskip(SKIP_1) | instid1(VALU_DEP_2)
	v_mul_f16_e32 v3, v0, v2
	v_mul_f16_e32 v2, v1, v2
	v_fma_f16 v3, v1, v15, -v3
	s_delay_alu instid0(VALU_DEP_2)
	v_fmac_f16_e32 v2, v0, v15
	v_add_co_u32 v0, vcc_lo, 0xc000, v193
	v_add_co_ci_u32_e32 v1, vcc_lo, 0, v194, vcc_lo
	s_clause 0x2
	global_load_b32 v4, v[0:1], off offset:420
	global_load_b32 v5, v[0:1], off offset:1392
	;; [unrolled: 1-line block ×3, first 2 shown]
	ds_load_2addr_b32 v[0:1], v146 offset0:8 offset1:251
	v_pack_b32_f16 v2, v3, v2
	s_waitcnt lgkmcnt(0)
	v_lshrrev_b32_e32 v8, 16, v0
	s_waitcnt vmcnt(2)
	v_lshrrev_b32_e32 v7, 16, v4
	s_delay_alu instid0(VALU_DEP_1) | instskip(NEXT) | instid1(VALU_DEP_3)
	v_mul_f16_e32 v9, v0, v7
	v_mul_f16_e32 v7, v8, v7
	s_delay_alu instid0(VALU_DEP_2) | instskip(NEXT) | instid1(VALU_DEP_2)
	v_fmac_f16_e32 v9, v8, v4
	v_fma_f16 v0, v0, v4, -v7
	v_lshrrev_b32_e32 v4, 16, v1
	s_waitcnt vmcnt(1)
	v_lshrrev_b32_e32 v7, 16, v5
	s_delay_alu instid0(VALU_DEP_3) | instskip(NEXT) | instid1(VALU_DEP_2)
	v_pack_b32_f16 v0, v0, v9
	v_mul_f16_e32 v8, v4, v7
	v_mul_f16_e32 v7, v1, v7
	ds_store_2addr_b32 v21, v2, v0 offset0:5 offset1:248
	v_fma_f16 v1, v1, v5, -v8
	v_fmac_f16_e32 v7, v4, v5
	ds_load_b32 v4, v122 offset:25272
	s_waitcnt vmcnt(0)
	v_lshrrev_b32_e32 v8, 16, v6
	v_pack_b32_f16 v0, v1, v7
	s_waitcnt lgkmcnt(0)
	v_lshrrev_b32_e32 v5, 16, v4
	s_delay_alu instid0(VALU_DEP_1) | instskip(SKIP_1) | instid1(VALU_DEP_2)
	v_mul_f16_e32 v10, v5, v8
	v_mul_f16_e32 v8, v4, v8
	v_fma_f16 v4, v4, v6, -v10
	s_delay_alu instid0(VALU_DEP_2) | instskip(NEXT) | instid1(VALU_DEP_1)
	v_fmac_f16_e32 v8, v5, v6
	v_pack_b32_f16 v1, v4, v8
	ds_store_2addr_b32 v23, v0, v1 offset0:11 offset1:254
	s_waitcnt lgkmcnt(0)
	s_barrier
	buffer_gl0_inv
	ds_load_2addr_b32 v[12:13], v187 offset0:6 offset1:249
	ds_load_2addr_b32 v[2:3], v188 offset0:8 offset1:251
	ds_load_2addr_b32 v[4:5], v122 offset1:243
	s_waitcnt lgkmcnt(1)
	v_pk_add_f16 v0, v3, v12
	v_pk_add_f16 v1, v3, v12 neg_lo:[0,1] neg_hi:[0,1]
	s_waitcnt lgkmcnt(0)
	s_delay_alu instid0(VALU_DEP_2) | instskip(NEXT) | instid1(VALU_DEP_2)
	v_pk_fma_f16 v0, v0, 0.5, v4 op_sel_hi:[1,0,1] neg_lo:[1,0,0] neg_hi:[1,0,0]
	v_pk_mul_f16 v1, 0x3aee, v1 op_sel_hi:[0,1]
	s_delay_alu instid0(VALU_DEP_1) | instskip(SKIP_2) | instid1(VALU_DEP_2)
	v_pk_add_f16 v20, v0, v1 op_sel:[0,1] op_sel_hi:[1,0] neg_lo:[0,1] neg_hi:[0,1]
	v_pk_add_f16 v174, v0, v1 op_sel:[0,1] op_sel_hi:[1,0]
	v_pk_add_f16 v0, v4, v3
	v_bfi_b32 v255, 0xffff, v20, v174
	s_delay_alu instid0(VALU_DEP_2)
	v_pk_add_f16 v12, v0, v12
	ds_load_b32 v21, v122 offset:25272
	ds_load_2addr_b32 v[3:4], v179 offset0:6 offset1:249
	ds_load_2addr_b32 v[6:7], v176 offset0:6 offset1:249
	;; [unrolled: 1-line block ×9, first 2 shown]
	ds_load_2addr_b32 v[16:17], v171 offset1:243
	s_waitcnt lgkmcnt(0)
	s_barrier
	buffer_gl0_inv
	scratch_load_b32 v22, off, off offset:208 ; 4-byte Folded Reload
	s_waitcnt vmcnt(0)
	ds_store_2addr_b32 v22, v12, v255 offset1:1
	v_bfi_b32 v12, 0xffff, v174, v20
	ds_store_b32 v22, v12 offset:8
	v_pk_add_f16 v12, v3, v13
	s_delay_alu instid0(VALU_DEP_1) | instskip(SKIP_2) | instid1(VALU_DEP_2)
	v_pk_fma_f16 v12, v12, 0.5, v5 op_sel_hi:[1,0,1] neg_lo:[1,0,0] neg_hi:[1,0,0]
	v_pk_add_f16 v5, v5, v3
	v_pk_add_f16 v3, v3, v13 neg_lo:[0,1] neg_hi:[0,1]
	v_pk_add_f16 v5, v5, v13
	s_delay_alu instid0(VALU_DEP_2) | instskip(NEXT) | instid1(VALU_DEP_1)
	v_pk_mul_f16 v3, 0x3aee, v3 op_sel_hi:[0,1]
	v_pk_add_f16 v13, v12, v3 op_sel:[0,1] op_sel_hi:[1,0] neg_lo:[0,1] neg_hi:[0,1]
	v_pk_add_f16 v3, v12, v3 op_sel:[0,1] op_sel_hi:[1,0]
	s_delay_alu instid0(VALU_DEP_1)
	v_bfi_b32 v12, 0xffff, v13, v3
	v_bfi_b32 v3, 0xffff, v3, v13
	scratch_load_b32 v13, off, off offset:220 ; 4-byte Folded Reload
	s_waitcnt vmcnt(0)
	ds_store_2addr_b32 v13, v5, v12 offset1:1
	ds_store_b32 v13, v3 offset:8
	v_pk_add_f16 v3, v4, v8
	v_pk_add_f16 v5, v4, v8 neg_lo:[0,1] neg_hi:[0,1]
	v_pk_add_f16 v4, v6, v4
	s_delay_alu instid0(VALU_DEP_3) | instskip(SKIP_3) | instid1(VALU_DEP_2)
	v_pk_fma_f16 v3, v3, 0.5, v6 op_sel_hi:[1,0,1] neg_lo:[1,0,0] neg_hi:[1,0,0]
	scratch_load_b32 v6, off, off offset:212 ; 4-byte Folded Reload
	v_pk_mul_f16 v5, 0x3aee, v5 op_sel_hi:[0,1]
	v_pk_add_f16 v4, v4, v8
	v_pk_add_f16 v12, v3, v5 op_sel:[0,1] op_sel_hi:[1,0] neg_lo:[0,1] neg_hi:[0,1]
	v_pk_add_f16 v3, v3, v5 op_sel:[0,1] op_sel_hi:[1,0]
	s_delay_alu instid0(VALU_DEP_1)
	v_bfi_b32 v5, 0xffff, v12, v3
	v_bfi_b32 v3, 0xffff, v3, v12
	s_waitcnt vmcnt(0)
	ds_store_2addr_b32 v6, v4, v5 offset1:1
	ds_store_b32 v6, v3 offset:8
	v_pk_add_f16 v3, v137, v9
	v_pk_add_f16 v5, v137, v9 neg_lo:[0,1] neg_hi:[0,1]
	v_pk_add_f16 v4, v7, v137
	s_delay_alu instid0(VALU_DEP_3) | instskip(NEXT) | instid1(VALU_DEP_3)
	v_pk_fma_f16 v3, v3, 0.5, v7 op_sel_hi:[1,0,1] neg_lo:[1,0,0] neg_hi:[1,0,0]
	v_pk_mul_f16 v5, 0x3aee, v5 op_sel_hi:[0,1]
	s_delay_alu instid0(VALU_DEP_3) | instskip(SKIP_1) | instid1(VALU_DEP_3)
	v_pk_add_f16 v4, v4, v9
	v_lshrrev_b32_e32 v7, 16, v139
	v_pk_add_f16 v6, v3, v5 op_sel:[0,1] op_sel_hi:[1,0] neg_lo:[0,1] neg_hi:[0,1]
	v_pk_add_f16 v3, v3, v5 op_sel:[0,1] op_sel_hi:[1,0]
	s_delay_alu instid0(VALU_DEP_1)
	v_bfi_b32 v5, 0xffff, v6, v3
	v_bfi_b32 v3, 0xffff, v3, v6
	scratch_load_b32 v6, off, off offset:236 ; 4-byte Folded Reload
	s_waitcnt vmcnt(0)
	ds_store_2addr_b32 v6, v4, v5 offset1:1
	ds_store_b32 v6, v3 offset:8
	v_pk_add_f16 v3, v138, v0
	v_pk_add_f16 v4, v138, v0 neg_lo:[0,1] neg_hi:[0,1]
	s_delay_alu instid0(VALU_DEP_2) | instskip(NEXT) | instid1(VALU_DEP_2)
	v_pk_fma_f16 v3, v3, 0.5, v193 op_sel_hi:[1,0,1] neg_lo:[1,0,0] neg_hi:[1,0,0]
	v_pk_mul_f16 v4, 0x3aee, v4 op_sel_hi:[0,1]
	s_delay_alu instid0(VALU_DEP_1) | instskip(SKIP_2) | instid1(VALU_DEP_2)
	v_pk_add_f16 v5, v3, v4 op_sel:[0,1] op_sel_hi:[1,0] neg_lo:[0,1] neg_hi:[0,1]
	v_pk_add_f16 v3, v3, v4 op_sel:[0,1] op_sel_hi:[1,0]
	v_pk_add_f16 v4, v193, v138
	v_bfi_b32 v6, 0xffff, v5, v3
	s_delay_alu instid0(VALU_DEP_2)
	v_pk_add_f16 v0, v4, v0
	scratch_load_b32 v4, off, off offset:216 ; 4-byte Folded Reload
	v_bfi_b32 v3, 0xffff, v3, v5
	s_waitcnt vmcnt(0)
	ds_store_2addr_b32 v4, v0, v6 offset1:1
	ds_store_b32 v4, v3 offset:8
	v_pk_add_f16 v3, v194, v10
	v_pk_add_f16 v0, v10, v1
	v_lshrrev_b32_e32 v6, 16, v125
	s_delay_alu instid0(VALU_DEP_3) | instskip(SKIP_1) | instid1(VALU_DEP_4)
	v_pk_add_f16 v3, v3, v1
	v_pk_add_f16 v1, v10, v1 neg_lo:[0,1] neg_hi:[0,1]
	v_pk_fma_f16 v0, v0, 0.5, v194 op_sel_hi:[1,0,1] neg_lo:[1,0,0] neg_hi:[1,0,0]
	s_delay_alu instid0(VALU_DEP_2) | instskip(NEXT) | instid1(VALU_DEP_1)
	v_pk_mul_f16 v1, 0x3aee, v1 op_sel_hi:[0,1]
	v_pk_add_f16 v4, v0, v1 op_sel:[0,1] op_sel_hi:[1,0] neg_lo:[0,1] neg_hi:[0,1]
	v_pk_add_f16 v0, v0, v1 op_sel:[0,1] op_sel_hi:[1,0]
	s_delay_alu instid0(VALU_DEP_1)
	v_bfi_b32 v1, 0xffff, v4, v0
	v_bfi_b32 v0, 0xffff, v0, v4
	scratch_load_b32 v4, off, off offset:240 ; 4-byte Folded Reload
	s_waitcnt vmcnt(0)
	ds_store_2addr_b32 v4, v3, v1 offset1:1
	ds_store_b32 v4, v0 offset:8
	v_pk_add_f16 v0, v11, v14
	v_pk_add_f16 v1, v11, v14 neg_lo:[0,1] neg_hi:[0,1]
	s_delay_alu instid0(VALU_DEP_2) | instskip(NEXT) | instid1(VALU_DEP_2)
	v_pk_fma_f16 v0, v0, 0.5, v18 op_sel_hi:[1,0,1] neg_lo:[1,0,0] neg_hi:[1,0,0]
	v_pk_mul_f16 v1, 0x3aee, v1 op_sel_hi:[0,1]
	s_delay_alu instid0(VALU_DEP_1) | instskip(SKIP_2) | instid1(VALU_DEP_2)
	v_pk_add_f16 v3, v0, v1 op_sel:[0,1] op_sel_hi:[1,0] neg_lo:[0,1] neg_hi:[0,1]
	v_pk_add_f16 v0, v0, v1 op_sel:[0,1] op_sel_hi:[1,0]
	v_pk_add_f16 v1, v18, v11
	v_bfi_b32 v4, 0xffff, v3, v0
	v_bfi_b32 v0, 0xffff, v0, v3
	scratch_load_b32 v3, off, off offset:232 ; 4-byte Folded Reload
	v_pk_add_f16 v1, v1, v14
	s_waitcnt vmcnt(0)
	ds_store_2addr_b32 v3, v1, v4 offset1:1
	ds_store_b32 v3, v0 offset:8
	v_pk_add_f16 v0, v16, v15
	v_pk_add_f16 v3, v16, v15 neg_lo:[0,1] neg_hi:[0,1]
	v_pk_add_f16 v1, v19, v16
	s_delay_alu instid0(VALU_DEP_3) | instskip(NEXT) | instid1(VALU_DEP_3)
	v_pk_fma_f16 v0, v0, 0.5, v19 op_sel_hi:[1,0,1] neg_lo:[1,0,0] neg_hi:[1,0,0]
	v_pk_mul_f16 v3, 0x3aee, v3 op_sel_hi:[0,1]
	s_delay_alu instid0(VALU_DEP_3) | instskip(NEXT) | instid1(VALU_DEP_2)
	v_pk_add_f16 v1, v1, v15
	v_pk_add_f16 v4, v0, v3 op_sel:[0,1] op_sel_hi:[1,0] neg_lo:[0,1] neg_hi:[0,1]
	v_pk_add_f16 v0, v0, v3 op_sel:[0,1] op_sel_hi:[1,0]
	s_delay_alu instid0(VALU_DEP_1)
	v_bfi_b32 v3, 0xffff, v4, v0
	v_bfi_b32 v0, 0xffff, v0, v4
	scratch_load_b32 v4, off, off offset:228 ; 4-byte Folded Reload
	s_waitcnt vmcnt(0)
	ds_store_2addr_b32 v4, v1, v3 offset1:1
	ds_store_b32 v4, v0 offset:8
	v_pk_add_f16 v0, v17, v21
	v_pk_add_f16 v1, v2, v17
	v_lshrrev_b32_e32 v4, 16, v123
	s_delay_alu instid0(VALU_DEP_3) | instskip(SKIP_1) | instid1(VALU_DEP_4)
	v_pk_fma_f16 v0, v0, 0.5, v2 op_sel_hi:[1,0,1] neg_lo:[1,0,0] neg_hi:[1,0,0]
	v_pk_add_f16 v2, v17, v21 neg_lo:[0,1] neg_hi:[0,1]
	v_pk_add_f16 v1, v1, v21
	s_delay_alu instid0(VALU_DEP_2) | instskip(NEXT) | instid1(VALU_DEP_1)
	v_pk_mul_f16 v2, 0x3aee, v2 op_sel_hi:[0,1]
	v_pk_add_f16 v3, v0, v2 op_sel:[0,1] op_sel_hi:[1,0] neg_lo:[0,1] neg_hi:[0,1]
	v_pk_add_f16 v0, v0, v2 op_sel:[0,1] op_sel_hi:[1,0]
	s_delay_alu instid0(VALU_DEP_1)
	v_bfi_b32 v2, 0xffff, v3, v0
	v_bfi_b32 v0, 0xffff, v0, v3
	scratch_load_b32 v3, off, off offset:224 ; 4-byte Folded Reload
	s_waitcnt vmcnt(0)
	ds_store_2addr_b32 v3, v1, v2 offset1:1
	ds_store_b32 v3, v0 offset:8
	s_waitcnt lgkmcnt(0)
	s_barrier
	buffer_gl0_inv
	ds_load_2addr_b32 v[0:1], v171 offset1:243
	s_waitcnt lgkmcnt(0)
	v_lshrrev_b32_e32 v2, 16, v1
	v_mul_f16_e32 v3, v4, v1
	s_delay_alu instid0(VALU_DEP_2) | instskip(NEXT) | instid1(VALU_DEP_2)
	v_mul_f16_e32 v9, v4, v2
	v_fma_f16 v10, v123, v2, -v3
	ds_load_b32 v2, v122 offset:25272
	v_lshrrev_b32_e32 v4, 16, v124
	v_fmac_f16_e32 v9, v123, v1
	v_lshrrev_b32_e32 v1, 16, v0
	s_waitcnt lgkmcnt(0)
	v_lshrrev_b32_e32 v3, 16, v2
	s_delay_alu instid0(VALU_DEP_1) | instskip(SKIP_1) | instid1(VALU_DEP_2)
	v_mul_f16_e32 v11, v4, v3
	v_mul_f16_e32 v4, v4, v2
	v_fmac_f16_e32 v11, v124, v2
	v_lshrrev_b32_e32 v2, 16, v182
	s_delay_alu instid0(VALU_DEP_3) | instskip(SKIP_1) | instid1(VALU_DEP_3)
	v_fma_f16 v12, v124, v3, -v4
	v_lshrrev_b32_e32 v4, 16, v183
	v_mul_f16_e32 v13, v2, v1
	v_mul_f16_e32 v2, v2, v0
	s_delay_alu instid0(VALU_DEP_2) | instskip(NEXT) | instid1(VALU_DEP_2)
	v_fmac_f16_e64 v13, v182, v0
	v_fma_f16 v14, v182, v1, -v2
	ds_load_2addr_b32 v[0:1], v146 offset0:8 offset1:251
	s_waitcnt lgkmcnt(0)
	v_lshrrev_b32_e32 v2, 16, v1
	v_mul_f16_e32 v3, v4, v1
	s_delay_alu instid0(VALU_DEP_2) | instskip(NEXT) | instid1(VALU_DEP_2)
	v_mul_f16_e32 v15, v4, v2
	v_fma_f16 v16, v183, v2, -v3
	v_lshrrev_b32_e32 v2, 16, v0
	s_delay_alu instid0(VALU_DEP_3) | instskip(SKIP_1) | instid1(VALU_DEP_1)
	v_fmac_f16_e64 v15, v183, v1
	v_lshrrev_b32_e32 v1, 16, v126
	v_mul_f16_e32 v17, v1, v2
	v_mul_f16_e32 v3, v1, v0
	s_delay_alu instid0(VALU_DEP_2)
	v_fmac_f16_e32 v17, v126, v0
	ds_load_2addr_b32 v[0:1], v149 offset0:10 offset1:253
	v_fma_f16 v20, v126, v2, -v3
	v_lshrrev_b32_e32 v2, 16, v127
	s_waitcnt lgkmcnt(0)
	v_lshrrev_b32_e32 v4, 16, v1
	v_mul_f16_e32 v5, v6, v1
	s_delay_alu instid0(VALU_DEP_2) | instskip(NEXT) | instid1(VALU_DEP_2)
	v_mul_f16_e32 v18, v6, v4
	v_fma_f16 v19, v125, v4, -v5
	v_lshrrev_b32_e32 v4, 16, v128
	v_lshrrev_b32_e32 v6, 16, v129
	s_delay_alu instid0(VALU_DEP_4) | instskip(SKIP_1) | instid1(VALU_DEP_1)
	v_fmac_f16_e32 v18, v125, v1
	v_lshrrev_b32_e32 v1, 16, v0
	v_mul_f16_e32 v21, v2, v1
	v_mul_f16_e32 v2, v2, v0
	s_delay_alu instid0(VALU_DEP_2) | instskip(NEXT) | instid1(VALU_DEP_2)
	v_fmac_f16_e32 v21, v127, v0
	v_fma_f16 v22, v127, v1, -v2
	ds_load_2addr_b32 v[0:1], v161 offset0:2 offset1:245
	s_waitcnt lgkmcnt(0)
	v_lshrrev_b32_e32 v2, 16, v1
	v_mul_f16_e32 v3, v4, v1
	s_delay_alu instid0(VALU_DEP_2) | instskip(NEXT) | instid1(VALU_DEP_2)
	v_mul_f16_e32 v23, v4, v2
	v_fma_f16 v123, v128, v2, -v3
	v_lshrrev_b32_e32 v2, 16, v0
	s_delay_alu instid0(VALU_DEP_3) | instskip(SKIP_1) | instid1(VALU_DEP_1)
	v_fmac_f16_e64 v23, v128, v1
	v_lshrrev_b32_e32 v1, 16, v130
	v_mul_f16_e32 v124, v1, v2
	v_mul_f16_e32 v3, v1, v0
	s_delay_alu instid0(VALU_DEP_2)
	v_fmac_f16_e64 v124, v130, v0
	ds_load_2addr_b32 v[0:1], v163 offset0:4 offset1:247
	v_fma_f16 v130, v130, v2, -v3
	v_lshrrev_b32_e32 v2, 16, v131
	s_waitcnt lgkmcnt(0)
	v_lshrrev_b32_e32 v4, 16, v1
	v_mul_f16_e32 v5, v6, v1
	s_delay_alu instid0(VALU_DEP_2) | instskip(NEXT) | instid1(VALU_DEP_2)
	v_mul_f16_e32 v125, v6, v4
	v_fma_f16 v126, v129, v4, -v5
	v_lshrrev_b32_e32 v4, 16, v132
	v_lshrrev_b32_e32 v6, 16, v133
	s_delay_alu instid0(VALU_DEP_4) | instskip(SKIP_1) | instid1(VALU_DEP_1)
	v_fmac_f16_e64 v125, v129, v1
	v_lshrrev_b32_e32 v1, 16, v0
	v_mul_f16_e64 v129, v2, v1
	v_mul_f16_e32 v2, v2, v0
	s_delay_alu instid0(VALU_DEP_2) | instskip(NEXT) | instid1(VALU_DEP_2)
	v_fmac_f16_e64 v129, v131, v0
	v_fma_f16 v131, v131, v1, -v2
	ds_load_2addr_b32 v[0:1], v181 offset0:12 offset1:255
	s_waitcnt lgkmcnt(0)
	v_lshrrev_b32_e32 v2, 16, v1
	v_mul_f16_e32 v3, v4, v1
	s_delay_alu instid0(VALU_DEP_2) | instskip(NEXT) | instid1(VALU_DEP_2)
	v_mul_f16_e64 v137, v4, v2
	v_fma_f16 v138, v132, v2, -v3
	v_lshrrev_b32_e32 v2, 16, v0
	s_delay_alu instid0(VALU_DEP_3) | instskip(SKIP_1) | instid1(VALU_DEP_1)
	v_fmac_f16_e64 v137, v132, v1
	v_lshrrev_b32_e32 v1, 16, v134
	v_mul_f16_e64 v132, v1, v2
	v_mul_f16_e32 v3, v1, v0
	s_delay_alu instid0(VALU_DEP_2)
	v_fmac_f16_e64 v132, v134, v0
	ds_load_2addr_b32 v[0:1], v179 offset0:6 offset1:249
	v_fma_f16 v134, v134, v2, -v3
	v_lshrrev_b32_e32 v2, 16, v135
	s_waitcnt lgkmcnt(0)
	v_lshrrev_b32_e32 v4, 16, v1
	v_mul_f16_e32 v5, v6, v1
	s_delay_alu instid0(VALU_DEP_2) | instskip(NEXT) | instid1(VALU_DEP_2)
	v_mul_f16_e64 v174, v6, v4
	v_fma_f16 v182, v133, v4, -v5
	v_lshrrev_b32_e32 v4, 16, v136
	s_delay_alu instid0(VALU_DEP_3) | instskip(SKIP_1) | instid1(VALU_DEP_1)
	v_fmac_f16_e64 v174, v133, v1
	v_lshrrev_b32_e32 v1, 16, v0
	v_mul_f16_e64 v133, v2, v1
	v_mul_f16_e32 v2, v2, v0
	s_delay_alu instid0(VALU_DEP_2) | instskip(NEXT) | instid1(VALU_DEP_2)
	v_fmac_f16_e64 v133, v135, v0
	v_fma_f16 v135, v135, v1, -v2
	ds_load_2addr_b32 v[0:1], v187 offset0:6 offset1:249
	s_waitcnt lgkmcnt(0)
	v_lshrrev_b32_e32 v2, 16, v1
	v_mul_f16_e32 v3, v4, v1
	s_delay_alu instid0(VALU_DEP_2) | instskip(NEXT) | instid1(VALU_DEP_2)
	v_mul_f16_e64 v183, v4, v2
	v_fma_f16 v193, v136, v2, -v3
	v_lshrrev_b32_e32 v2, 16, v0
	s_delay_alu instid0(VALU_DEP_3) | instskip(SKIP_1) | instid1(VALU_DEP_1)
	v_fmac_f16_e64 v183, v136, v1
	v_lshrrev_b32_e32 v1, 16, v140
	v_mul_f16_e32 v3, v1, v2
	v_mul_f16_e32 v4, v1, v0
	s_delay_alu instid0(VALU_DEP_2)
	v_fmac_f16_e64 v3, v140, v0
	ds_load_2addr_b32 v[0:1], v188 offset0:8 offset1:251
	v_fma_f16 v4, v140, v2, -v4
	s_waitcnt lgkmcnt(0)
	v_lshrrev_b32_e32 v5, 16, v1
	v_mul_f16_e32 v6, v7, v1
	s_delay_alu instid0(VALU_DEP_2) | instskip(NEXT) | instid1(VALU_DEP_2)
	v_mul_f16_e32 v7, v7, v5
	v_fma_f16 v5, v139, v5, -v6
	s_delay_alu instid0(VALU_DEP_2)
	v_fmac_f16_e64 v7, v139, v1
	ds_load_2addr_b32 v[1:2], v122 offset1:243
	v_add_f16_e32 v8, v5, v4
	v_sub_f16_e64 v139, v5, v4
	v_sub_f16_e64 v140, v7, v3
	s_waitcnt lgkmcnt(0)
	v_lshrrev_b32_e32 v136, 16, v1
	s_delay_alu instid0(VALU_DEP_1) | instskip(SKIP_2) | instid1(VALU_DEP_3)
	v_add_f16_e64 v6, v136, v5
	v_add_f16_e32 v5, v1, v7
	v_fmac_f16_e64 v136, -0.5, v8
	v_add_f16_e32 v4, v6, v4
	v_add_f16_e32 v6, v7, v3
	s_delay_alu instid0(VALU_DEP_4) | instskip(NEXT) | instid1(VALU_DEP_2)
	v_add_f16_e32 v5, v5, v3
	v_fma_f16 v1, -0.5, v6, v1
	s_delay_alu instid0(VALU_DEP_2) | instskip(SKIP_2) | instid1(VALU_DEP_4)
	v_pack_b32_f16 v194, v5, v4
	v_fma_f16 v4, 0x3aee, v140, v136
	v_fmac_f16_e64 v136, 0xbaee, v140
	v_fma_f16 v3, 0xbaee, v139, v1
	v_fmac_f16_e64 v1, 0x3aee, v139
	v_add_f16_e64 v139, v2, v133
	s_delay_alu instid0(VALU_DEP_3)
	v_pack_b32_f16 v255, v3, v4
	ds_load_2addr_b32 v[3:4], v176 offset0:6 offset1:249
	ds_load_2addr_b32 v[5:6], v159 offset0:12 offset1:255
	;; [unrolled: 1-line block ×3, first 2 shown]
	s_waitcnt lgkmcnt(0)
	s_barrier
	buffer_gl0_inv
	scratch_load_b32 v127, off, off offset:244 ; 4-byte Folded Reload
	v_pack_b32_f16 v1, v1, v136
	v_lshrrev_b32_e32 v136, 16, v2
	s_waitcnt vmcnt(0)
	ds_store_2addr_b32 v127, v194, v255 offset1:3
	ds_store_b32 v127, v1 offset:24
	scratch_load_b32 v127, off, off offset:248 ; 4-byte Folded Reload
	v_add_f16_e64 v1, v133, v183
	s_delay_alu instid0(VALU_DEP_1) | instskip(SKIP_1) | instid1(VALU_DEP_1)
	v_fmac_f16_e32 v2, -0.5, v1
	v_sub_f16_e64 v1, v135, v193
	v_fma_f16 v140, 0xbaee, v1, v2
	v_fmac_f16_e32 v2, 0x3aee, v1
	v_add_f16_e64 v1, v135, v193
	v_add_f16_e64 v135, v136, v135
	s_delay_alu instid0(VALU_DEP_2) | instskip(SKIP_1) | instid1(VALU_DEP_3)
	v_fmac_f16_e64 v136, -0.5, v1
	v_sub_f16_e64 v1, v133, v183
	v_add_f16_e64 v135, v135, v193
	s_delay_alu instid0(VALU_DEP_2) | instskip(SKIP_1) | instid1(VALU_DEP_2)
	v_fma_f16 v133, 0x3aee, v1, v136
	v_fmac_f16_e64 v136, 0xbaee, v1
	v_pack_b32_f16 v133, v140, v133
	s_delay_alu instid0(VALU_DEP_2) | instskip(SKIP_1) | instid1(VALU_DEP_1)
	v_pack_b32_f16 v1, v2, v136
	v_add_f16_e64 v2, v139, v183
	v_pack_b32_f16 v2, v2, v135
	s_waitcnt vmcnt(0)
	ds_store_2addr_b32 v127, v2, v133 offset1:3
	ds_store_b32 v127, v1 offset:24
	scratch_load_b32 v127, off, off offset:252 ; 4-byte Folded Reload
	v_lshrrev_b32_e32 v1, 16, v3
	v_add_f16_e64 v133, v182, v134
	v_sub_f16_e64 v135, v182, v134
	s_delay_alu instid0(VALU_DEP_3) | instskip(NEXT) | instid1(VALU_DEP_3)
	v_add_f16_e64 v2, v1, v182
	v_fmac_f16_e64 v1, -0.5, v133
	v_add_f16_e64 v133, v3, v174
	s_delay_alu instid0(VALU_DEP_3) | instskip(SKIP_1) | instid1(VALU_DEP_3)
	v_add_f16_e64 v2, v2, v134
	v_add_f16_e64 v134, v174, v132
	;; [unrolled: 1-line block ×3, first 2 shown]
	v_sub_f16_e64 v132, v174, v132
	s_delay_alu instid0(VALU_DEP_3) | instskip(NEXT) | instid1(VALU_DEP_3)
	v_fma_f16 v3, -0.5, v134, v3
	v_pack_b32_f16 v2, v133, v2
	s_delay_alu instid0(VALU_DEP_3) | instskip(SKIP_1) | instid1(VALU_DEP_4)
	v_fma_f16 v134, 0x3aee, v132, v1
	v_fmac_f16_e64 v1, 0xbaee, v132
	v_fma_f16 v133, 0xbaee, v135, v3
	v_fmac_f16_e64 v3, 0x3aee, v135
	s_delay_alu instid0(VALU_DEP_2) | instskip(NEXT) | instid1(VALU_DEP_2)
	v_pack_b32_f16 v133, v133, v134
	v_pack_b32_f16 v1, v3, v1
	v_add_f16_e64 v3, v4, v129
	s_waitcnt vmcnt(0)
	ds_store_b32 v127, v1 offset:24
	v_add_f16_e64 v1, v129, v137
	ds_store_2addr_b32 v127, v2, v133 offset1:3
	v_lshrrev_b32_e32 v2, 16, v4
	v_fmac_f16_e32 v4, -0.5, v1
	v_sub_f16_e64 v1, v131, v138
	s_delay_alu instid0(VALU_DEP_1) | instskip(SKIP_3) | instid1(VALU_DEP_2)
	v_fma_f16 v132, 0xbaee, v1, v4
	v_fmac_f16_e32 v4, 0x3aee, v1
	v_add_f16_e64 v1, v131, v138
	v_add_f16_e64 v131, v2, v131
	v_fmac_f16_e32 v2, -0.5, v1
	v_sub_f16_e64 v1, v129, v137
	s_delay_alu instid0(VALU_DEP_1) | instskip(SKIP_1) | instid1(VALU_DEP_1)
	v_fma_f16 v129, 0x3aee, v1, v2
	v_fmac_f16_e32 v2, 0xbaee, v1
	v_pack_b32_f16 v1, v4, v2
	scratch_load_b32 v4, off, off offset:256 ; 4-byte Folded Reload
	v_add_f16_e64 v2, v3, v137
	v_add_f16_e64 v3, v131, v138
	s_delay_alu instid0(VALU_DEP_1)
	v_pack_b32_f16 v2, v2, v3
	v_pack_b32_f16 v3, v132, v129
	s_waitcnt vmcnt(0)
	ds_store_2addr_b32 v4, v2, v3 offset1:3
	ds_store_b32 v4, v1 offset:24
	v_lshrrev_b32_e32 v1, 16, v5
	v_add_f16_e64 v3, v126, v130
	v_sub_f16_e64 v4, v126, v130
	s_delay_alu instid0(VALU_DEP_3) | instskip(NEXT) | instid1(VALU_DEP_3)
	v_add_f16_e32 v2, v1, v126
	v_fmac_f16_e32 v1, -0.5, v3
	v_add_f16_e32 v3, v5, v125
	v_add_f16_e32 v126, v125, v124
	s_delay_alu instid0(VALU_DEP_4) | instskip(NEXT) | instid1(VALU_DEP_3)
	v_add_f16_e64 v2, v2, v130
	v_add_f16_e32 v3, v3, v124
	v_sub_f16_e32 v124, v125, v124
	s_delay_alu instid0(VALU_DEP_2) | instskip(SKIP_1) | instid1(VALU_DEP_3)
	v_pack_b32_f16 v2, v3, v2
	v_fma_f16 v3, -0.5, v126, v5
	v_fmamk_f16 v125, v124, 0x3aee, v1
	v_fmac_f16_e32 v1, 0xbaee, v124
	s_delay_alu instid0(VALU_DEP_3) | instskip(SKIP_1) | instid1(VALU_DEP_2)
	v_fmamk_f16 v5, v4, 0xbaee, v3
	v_fmac_f16_e32 v3, 0x3aee, v4
	v_pack_b32_f16 v5, v5, v125
	scratch_load_b32 v125, off, off offset:260 ; 4-byte Folded Reload
	v_pack_b32_f16 v1, v3, v1
	v_add_f16_e32 v3, v6, v21
	s_waitcnt vmcnt(0)
	ds_store_b32 v125, v1 offset:24
	v_add_f16_e32 v1, v21, v23
	ds_store_2addr_b32 v125, v2, v5 offset1:3
	v_lshrrev_b32_e32 v2, 16, v6
	v_fmac_f16_e32 v6, -0.5, v1
	v_sub_f16_e32 v1, v22, v123
	s_delay_alu instid0(VALU_DEP_3) | instskip(NEXT) | instid1(VALU_DEP_2)
	v_add_f16_e32 v5, v2, v22
	v_fmamk_f16 v4, v1, 0xbaee, v6
	v_fmac_f16_e32 v6, 0x3aee, v1
	v_add_f16_e32 v1, v22, v123
	s_delay_alu instid0(VALU_DEP_1) | instskip(SKIP_1) | instid1(VALU_DEP_1)
	v_fmac_f16_e32 v2, -0.5, v1
	v_sub_f16_e32 v1, v21, v23
	v_fmamk_f16 v21, v1, 0x3aee, v2
	v_fmac_f16_e32 v2, 0xbaee, v1
	s_delay_alu instid0(VALU_DEP_1) | instskip(SKIP_4) | instid1(VALU_DEP_3)
	v_pack_b32_f16 v1, v6, v2
	v_add_f16_e32 v2, v3, v23
	v_add_f16_e32 v3, v5, v123
	v_add_f16_e32 v5, v18, v17
	v_sub_f16_e32 v6, v18, v17
	v_pack_b32_f16 v2, v2, v3
	v_pack_b32_f16 v3, v4, v21
	scratch_load_b32 v4, off, off offset:264 ; 4-byte Folded Reload
	s_waitcnt vmcnt(0)
	ds_store_2addr_b32 v4, v2, v3 offset1:3
	ds_store_b32 v4, v1 offset:24
	v_lshrrev_b32_e32 v1, 16, v7
	v_add_f16_e32 v3, v19, v20
	v_sub_f16_e32 v4, v19, v20
	s_delay_alu instid0(VALU_DEP_3) | instskip(NEXT) | instid1(VALU_DEP_3)
	v_add_f16_e32 v2, v1, v19
	v_fmac_f16_e32 v1, -0.5, v3
	v_add_f16_e32 v3, v7, v18
	s_delay_alu instid0(VALU_DEP_3) | instskip(NEXT) | instid1(VALU_DEP_2)
	v_add_f16_e32 v2, v2, v20
	v_add_f16_e32 v3, v3, v17
	s_delay_alu instid0(VALU_DEP_1) | instskip(SKIP_3) | instid1(VALU_DEP_3)
	v_pack_b32_f16 v2, v3, v2
	v_fma_f16 v3, -0.5, v5, v7
	v_fmamk_f16 v7, v6, 0x3aee, v1
	v_fmac_f16_e32 v1, 0xbaee, v6
	v_fmamk_f16 v5, v4, 0xbaee, v3
	v_fmac_f16_e32 v3, 0x3aee, v4
	s_delay_alu instid0(VALU_DEP_2)
	v_pack_b32_f16 v5, v5, v7
	scratch_load_b32 v7, off, off offset:268 ; 4-byte Folded Reload
	v_pack_b32_f16 v1, v3, v1
	v_add_f16_e32 v3, v8, v13
	s_waitcnt vmcnt(0)
	ds_store_b32 v7, v1 offset:24
	v_add_f16_e32 v1, v13, v15
	ds_store_2addr_b32 v7, v2, v5 offset1:3
	v_lshrrev_b32_e32 v2, 16, v8
	v_lshrrev_b32_e32 v7, 16, v24
	v_fmac_f16_e32 v8, -0.5, v1
	v_sub_f16_e32 v1, v14, v16
	s_delay_alu instid0(VALU_DEP_4) | instskip(NEXT) | instid1(VALU_DEP_2)
	v_add_f16_e32 v5, v2, v14
	v_fmamk_f16 v4, v1, 0xbaee, v8
	v_fmac_f16_e32 v8, 0x3aee, v1
	v_add_f16_e32 v1, v14, v16
	s_delay_alu instid0(VALU_DEP_1) | instskip(SKIP_1) | instid1(VALU_DEP_1)
	v_fmac_f16_e32 v2, -0.5, v1
	v_sub_f16_e32 v1, v13, v15
	v_fmamk_f16 v6, v1, 0x3aee, v2
	v_fmac_f16_e32 v2, 0xbaee, v1
	s_delay_alu instid0(VALU_DEP_1) | instskip(SKIP_2) | instid1(VALU_DEP_1)
	v_pack_b32_f16 v1, v8, v2
	v_add_f16_e32 v2, v3, v15
	v_add_f16_e32 v3, v5, v16
	v_pack_b32_f16 v2, v2, v3
	v_pack_b32_f16 v3, v4, v6
	scratch_load_b32 v4, off, off offset:276 ; 4-byte Folded Reload
	s_waitcnt vmcnt(0)
	ds_store_2addr_b32 v4, v2, v3 offset1:3
	ds_store_b32 v4, v1 offset:24
	v_add_f16_e32 v1, v9, v11
	v_lshrrev_b32_e32 v2, 16, v0
	v_add_f16_e32 v3, v0, v9
	s_delay_alu instid0(VALU_DEP_3) | instskip(SKIP_1) | instid1(VALU_DEP_4)
	v_fmac_f16_e32 v0, -0.5, v1
	v_sub_f16_e32 v1, v10, v12
	v_add_f16_e32 v5, v2, v10
	s_delay_alu instid0(VALU_DEP_2) | instskip(SKIP_2) | instid1(VALU_DEP_1)
	v_fmamk_f16 v4, v1, 0xbaee, v0
	v_fmac_f16_e32 v0, 0x3aee, v1
	v_add_f16_e32 v1, v10, v12
	v_fmac_f16_e32 v2, -0.5, v1
	v_sub_f16_e32 v1, v9, v11
	s_delay_alu instid0(VALU_DEP_1)
	v_fmamk_f16 v6, v1, 0x3aee, v2
	v_fmac_f16_e32 v2, 0xbaee, v1
	v_add_f16_e32 v1, v3, v11
	scratch_load_b32 v3, off, off offset:272 ; 4-byte Folded Reload
	v_pack_b32_f16 v0, v0, v2
	v_add_f16_e32 v2, v5, v12
	s_delay_alu instid0(VALU_DEP_1)
	v_pack_b32_f16 v1, v1, v2
	v_pack_b32_f16 v2, v4, v6
	s_waitcnt vmcnt(0)
	ds_store_2addr_b32 v3, v1, v2 offset1:3
	ds_store_b32 v3, v0 offset:24
	s_waitcnt lgkmcnt(0)
	s_barrier
	buffer_gl0_inv
	ds_load_2addr_b32 v[0:1], v171 offset1:243
	v_lshrrev_b32_e32 v6, 16, v34
	s_waitcnt lgkmcnt(0)
	v_lshrrev_b32_e32 v2, 16, v1
	v_mul_f16_e64 v3, v170, v1
	s_delay_alu instid0(VALU_DEP_2) | instskip(NEXT) | instid1(VALU_DEP_2)
	v_mul_f16_e64 v9, v170, v2
	v_fma_f16 v10, v38, v2, -v3
	ds_load_b32 v2, v122 offset:25272
	v_fmac_f16_e32 v9, v38, v1
	v_lshrrev_b32_e32 v1, 16, v0
	s_waitcnt lgkmcnt(0)
	v_lshrrev_b32_e32 v3, 16, v2
	v_mul_f16_e64 v4, v177, v2
	s_delay_alu instid0(VALU_DEP_2) | instskip(NEXT) | instid1(VALU_DEP_2)
	v_mul_f16_e64 v11, v177, v3
	v_fma_f16 v12, v39, v3, -v4
	s_delay_alu instid0(VALU_DEP_2) | instskip(SKIP_1) | instid1(VALU_DEP_1)
	v_fmac_f16_e32 v11, v39, v2
	v_lshrrev_b32_e32 v2, 16, v36
	v_mul_f16_e32 v13, v2, v1
	v_mul_f16_e32 v2, v2, v0
	s_delay_alu instid0(VALU_DEP_2) | instskip(NEXT) | instid1(VALU_DEP_2)
	v_fmac_f16_e32 v13, v36, v0
	v_fma_f16 v14, v36, v1, -v2
	ds_load_2addr_b32 v[0:1], v146 offset0:8 offset1:251
	s_waitcnt lgkmcnt(0)
	v_lshrrev_b32_e32 v2, 16, v1
	v_mul_f16_e64 v3, v186, v1
	s_delay_alu instid0(VALU_DEP_2) | instskip(NEXT) | instid1(VALU_DEP_2)
	v_mul_f16_e64 v15, v186, v2
	v_fma_f16 v16, v37, v2, -v3
	v_lshrrev_b32_e32 v2, 16, v0
	s_delay_alu instid0(VALU_DEP_3) | instskip(SKIP_1) | instid1(VALU_DEP_1)
	v_fmac_f16_e32 v15, v37, v1
	v_lshrrev_b32_e32 v1, 16, v35
	v_mul_f16_e32 v17, v1, v2
	v_mul_f16_e32 v3, v1, v0
	s_delay_alu instid0(VALU_DEP_2)
	v_fmac_f16_e32 v17, v35, v0
	ds_load_2addr_b32 v[0:1], v149 offset0:10 offset1:253
	v_fma_f16 v20, v35, v2, -v3
	v_lshrrev_b32_e32 v2, 16, v32
	s_waitcnt lgkmcnt(0)
	v_lshrrev_b32_e32 v4, 16, v1
	v_mul_f16_e32 v5, v6, v1
	s_delay_alu instid0(VALU_DEP_2) | instskip(NEXT) | instid1(VALU_DEP_2)
	v_mul_f16_e32 v18, v6, v4
	v_fma_f16 v19, v34, v4, -v5
	v_lshrrev_b32_e32 v4, 16, v33
	v_lshrrev_b32_e32 v6, 16, v30
	s_delay_alu instid0(VALU_DEP_4) | instskip(SKIP_1) | instid1(VALU_DEP_1)
	v_fmac_f16_e32 v18, v34, v1
	v_lshrrev_b32_e32 v1, 16, v0
	v_mul_f16_e32 v21, v2, v1
	v_mul_f16_e32 v2, v2, v0
	s_delay_alu instid0(VALU_DEP_2) | instskip(NEXT) | instid1(VALU_DEP_2)
	v_fmac_f16_e32 v21, v32, v0
	v_fma_f16 v22, v32, v1, -v2
	ds_load_2addr_b32 v[0:1], v161 offset0:2 offset1:245
	s_waitcnt lgkmcnt(0)
	v_lshrrev_b32_e32 v2, 16, v1
	v_mul_f16_e32 v3, v4, v1
	s_delay_alu instid0(VALU_DEP_2) | instskip(NEXT) | instid1(VALU_DEP_2)
	v_mul_f16_e32 v23, v4, v2
	v_fma_f16 v32, v33, v2, -v3
	v_lshrrev_b32_e32 v2, 16, v0
	s_delay_alu instid0(VALU_DEP_3) | instskip(SKIP_1) | instid1(VALU_DEP_1)
	v_fmac_f16_e32 v23, v33, v1
	v_lshrrev_b32_e32 v1, 16, v31
	v_mul_f16_e32 v33, v1, v2
	v_mul_f16_e32 v3, v1, v0
	s_delay_alu instid0(VALU_DEP_2)
	v_fmac_f16_e32 v33, v31, v0
	ds_load_2addr_b32 v[0:1], v163 offset0:4 offset1:247
	v_fma_f16 v31, v31, v2, -v3
	v_lshrrev_b32_e32 v2, 16, v28
	s_waitcnt lgkmcnt(0)
	v_lshrrev_b32_e32 v4, 16, v1
	v_mul_f16_e32 v5, v6, v1
	s_delay_alu instid0(VALU_DEP_2) | instskip(NEXT) | instid1(VALU_DEP_2)
	v_mul_f16_e32 v34, v6, v4
	v_fma_f16 v35, v30, v4, -v5
	v_lshrrev_b32_e32 v4, 16, v29
	v_lshrrev_b32_e32 v6, 16, v26
	s_delay_alu instid0(VALU_DEP_4) | instskip(SKIP_1) | instid1(VALU_DEP_1)
	v_fmac_f16_e32 v34, v30, v1
	v_lshrrev_b32_e32 v1, 16, v0
	v_mul_f16_e32 v30, v2, v1
	v_mul_f16_e32 v2, v2, v0
	s_delay_alu instid0(VALU_DEP_2) | instskip(NEXT) | instid1(VALU_DEP_2)
	v_fmac_f16_e32 v30, v28, v0
	v_fma_f16 v28, v28, v1, -v2
	ds_load_2addr_b32 v[0:1], v181 offset0:12 offset1:255
	s_waitcnt lgkmcnt(0)
	v_lshrrev_b32_e32 v2, 16, v1
	v_mul_f16_e32 v3, v4, v1
	s_delay_alu instid0(VALU_DEP_2) | instskip(NEXT) | instid1(VALU_DEP_2)
	v_mul_f16_e32 v36, v4, v2
	v_fma_f16 v37, v29, v2, -v3
	v_lshrrev_b32_e32 v2, 16, v0
	s_delay_alu instid0(VALU_DEP_3) | instskip(SKIP_1) | instid1(VALU_DEP_1)
	v_fmac_f16_e32 v36, v29, v1
	v_lshrrev_b32_e32 v1, 16, v27
	v_mul_f16_e32 v29, v1, v2
	v_mul_f16_e32 v3, v1, v0
	s_delay_alu instid0(VALU_DEP_2)
	v_fmac_f16_e32 v29, v27, v0
	ds_load_2addr_b32 v[0:1], v179 offset0:6 offset1:249
	v_fma_f16 v27, v27, v2, -v3
	v_lshrrev_b32_e32 v2, 16, v142
	s_waitcnt lgkmcnt(0)
	v_lshrrev_b32_e32 v4, 16, v1
	v_mul_f16_e32 v5, v6, v1
	s_delay_alu instid0(VALU_DEP_2) | instskip(NEXT) | instid1(VALU_DEP_2)
	v_mul_f16_e32 v38, v6, v4
	v_fma_f16 v39, v26, v4, -v5
	v_lshrrev_b32_e32 v4, 16, v143
	s_delay_alu instid0(VALU_DEP_3) | instskip(SKIP_1) | instid1(VALU_DEP_1)
	v_fmac_f16_e32 v38, v26, v1
	v_lshrrev_b32_e32 v1, 16, v0
	v_mul_f16_e32 v26, v2, v1
	v_mul_f16_e32 v2, v2, v0
	s_delay_alu instid0(VALU_DEP_2) | instskip(NEXT) | instid1(VALU_DEP_2)
	v_fmac_f16_e64 v26, v142, v0
	v_fma_f16 v123, v142, v1, -v2
	ds_load_2addr_b32 v[0:1], v187 offset0:6 offset1:249
	s_waitcnt lgkmcnt(0)
	v_lshrrev_b32_e32 v2, 16, v1
	v_mul_f16_e32 v3, v4, v1
	s_delay_alu instid0(VALU_DEP_2) | instskip(NEXT) | instid1(VALU_DEP_2)
	v_mul_f16_e32 v124, v4, v2
	v_fma_f16 v125, v143, v2, -v3
	v_lshrrev_b32_e32 v2, 16, v0
	s_delay_alu instid0(VALU_DEP_3) | instskip(SKIP_1) | instid1(VALU_DEP_1)
	v_fmac_f16_e64 v124, v143, v1
	v_lshrrev_b32_e32 v1, 16, v25
	v_mul_f16_e32 v3, v1, v2
	v_mul_f16_e32 v4, v1, v0
	s_delay_alu instid0(VALU_DEP_2)
	v_fmac_f16_e32 v3, v25, v0
	ds_load_2addr_b32 v[0:1], v188 offset0:8 offset1:251
	v_fma_f16 v4, v25, v2, -v4
	s_waitcnt lgkmcnt(0)
	v_lshrrev_b32_e32 v5, 16, v1
	v_mul_f16_e32 v6, v7, v1
	s_delay_alu instid0(VALU_DEP_2) | instskip(NEXT) | instid1(VALU_DEP_2)
	v_mul_f16_e32 v7, v7, v5
	v_fma_f16 v5, v24, v5, -v6
	s_delay_alu instid0(VALU_DEP_2)
	v_fmac_f16_e32 v7, v24, v1
	ds_load_2addr_b32 v[1:2], v122 offset1:243
	v_add_f16_e32 v8, v5, v4
	v_sub_f16_e32 v25, v5, v4
	v_sub_f16_e32 v126, v7, v3
	s_waitcnt lgkmcnt(0)
	v_lshrrev_b32_e32 v24, 16, v1
	s_delay_alu instid0(VALU_DEP_1) | instskip(SKIP_2) | instid1(VALU_DEP_3)
	v_add_f16_e32 v6, v24, v5
	v_add_f16_e32 v5, v1, v7
	v_fmac_f16_e32 v24, -0.5, v8
	v_add_f16_e32 v4, v6, v4
	v_add_f16_e32 v6, v7, v3
	s_delay_alu instid0(VALU_DEP_4) | instskip(NEXT) | instid1(VALU_DEP_2)
	v_add_f16_e32 v5, v5, v3
	v_fma_f16 v1, -0.5, v6, v1
	s_delay_alu instid0(VALU_DEP_2) | instskip(SKIP_2) | instid1(VALU_DEP_4)
	v_pack_b32_f16 v127, v5, v4
	v_fmamk_f16 v4, v126, 0x3aee, v24
	v_fmac_f16_e32 v24, 0xbaee, v126
	v_fmamk_f16 v3, v25, 0xbaee, v1
	v_fmac_f16_e32 v1, 0x3aee, v25
	v_add_f16_e32 v25, v2, v26
	s_delay_alu instid0(VALU_DEP_3)
	v_pack_b32_f16 v128, v3, v4
	ds_load_2addr_b32 v[3:4], v176 offset0:6 offset1:249
	ds_load_2addr_b32 v[5:6], v159 offset0:12 offset1:255
	;; [unrolled: 1-line block ×3, first 2 shown]
	s_waitcnt lgkmcnt(0)
	s_barrier
	buffer_gl0_inv
	scratch_load_b32 v129, off, off offset:284 ; 4-byte Folded Reload
	v_pack_b32_f16 v1, v1, v24
	v_lshrrev_b32_e32 v24, 16, v2
	s_waitcnt vmcnt(0)
	ds_store_b32 v129, v1 offset:72
	v_add_f16_e32 v1, v26, v124
	ds_store_2addr_b32 v129, v127, v128 offset1:9
	v_fmac_f16_e32 v2, -0.5, v1
	v_sub_f16_e32 v1, v123, v125
	s_delay_alu instid0(VALU_DEP_1) | instskip(SKIP_3) | instid1(VALU_DEP_2)
	v_fmamk_f16 v126, v1, 0xbaee, v2
	v_fmac_f16_e32 v2, 0x3aee, v1
	v_add_f16_e32 v1, v123, v125
	v_add_f16_e32 v123, v24, v123
	v_fmac_f16_e32 v24, -0.5, v1
	v_sub_f16_e32 v1, v26, v124
	s_delay_alu instid0(VALU_DEP_1) | instskip(SKIP_1) | instid1(VALU_DEP_1)
	v_fmamk_f16 v26, v1, 0x3aee, v24
	v_fmac_f16_e32 v24, 0xbaee, v1
	v_pack_b32_f16 v1, v2, v24
	v_add_f16_e32 v2, v25, v124
	scratch_load_b32 v25, off, off offset:280 ; 4-byte Folded Reload
	v_add_f16_e32 v24, v123, v125
	s_delay_alu instid0(VALU_DEP_1)
	v_pack_b32_f16 v2, v2, v24
	v_pack_b32_f16 v24, v126, v26
	s_waitcnt vmcnt(0)
	ds_store_2addr_b32 v25, v2, v24 offset1:9
	ds_store_b32 v25, v1 offset:72
	v_lshrrev_b32_e32 v1, 16, v3
	v_add_f16_e32 v24, v39, v27
	v_add_f16_e32 v26, v38, v29
	v_sub_f16_e32 v25, v39, v27
	s_delay_alu instid0(VALU_DEP_4) | instskip(NEXT) | instid1(VALU_DEP_4)
	v_add_f16_e32 v2, v1, v39
	v_fmac_f16_e32 v1, -0.5, v24
	v_add_f16_e32 v24, v3, v38
	v_fma_f16 v3, -0.5, v26, v3
	s_delay_alu instid0(VALU_DEP_4) | instskip(SKIP_1) | instid1(VALU_DEP_4)
	v_add_f16_e32 v2, v2, v27
	v_sub_f16_e32 v27, v38, v29
	v_add_f16_e32 v24, v24, v29
	s_delay_alu instid0(VALU_DEP_2) | instskip(NEXT) | instid1(VALU_DEP_2)
	v_fmamk_f16 v26, v27, 0x3aee, v1
	v_pack_b32_f16 v2, v24, v2
	v_fmamk_f16 v24, v25, 0xbaee, v3
	v_fmac_f16_e32 v3, 0x3aee, v25
	v_fmac_f16_e32 v1, 0xbaee, v27
	s_delay_alu instid0(VALU_DEP_3)
	v_pack_b32_f16 v24, v24, v26
	scratch_load_b32 v26, off, off offset:288 ; 4-byte Folded Reload
	v_pack_b32_f16 v1, v3, v1
	v_add_f16_e32 v3, v4, v30
	s_waitcnt vmcnt(0)
	ds_store_b32 v26, v1 offset:72
	v_add_f16_e32 v1, v30, v36
	ds_store_2addr_b32 v26, v2, v24 offset1:9
	v_lshrrev_b32_e32 v2, 16, v4
	v_fmac_f16_e32 v4, -0.5, v1
	v_sub_f16_e32 v1, v28, v37
	s_delay_alu instid0(VALU_DEP_3) | instskip(NEXT) | instid1(VALU_DEP_2)
	v_add_f16_e32 v25, v2, v28
	v_fmamk_f16 v24, v1, 0xbaee, v4
	v_fmac_f16_e32 v4, 0x3aee, v1
	v_add_f16_e32 v1, v28, v37
	s_delay_alu instid0(VALU_DEP_1) | instskip(SKIP_1) | instid1(VALU_DEP_1)
	v_fmac_f16_e32 v2, -0.5, v1
	v_sub_f16_e32 v1, v30, v36
	v_fmamk_f16 v26, v1, 0x3aee, v2
	v_fmac_f16_e32 v2, 0xbaee, v1
	s_delay_alu instid0(VALU_DEP_1) | instskip(SKIP_4) | instid1(VALU_DEP_2)
	v_pack_b32_f16 v1, v4, v2
	scratch_load_b32 v4, off, off offset:292 ; 4-byte Folded Reload
	v_add_f16_e32 v2, v3, v36
	v_add_f16_e32 v3, v25, v37
	v_sub_f16_e32 v25, v34, v33
	v_pack_b32_f16 v2, v2, v3
	v_pack_b32_f16 v3, v24, v26
	s_waitcnt vmcnt(0)
	ds_store_2addr_b32 v4, v2, v3 offset1:9
	ds_store_b32 v4, v1 offset:72
	v_lshrrev_b32_e32 v1, 16, v5
	v_add_f16_e32 v3, v35, v31
	v_add_f16_e32 v24, v34, v33
	v_sub_f16_e32 v4, v35, v31
	s_delay_alu instid0(VALU_DEP_4) | instskip(NEXT) | instid1(VALU_DEP_4)
	v_add_f16_e32 v2, v1, v35
	v_fmac_f16_e32 v1, -0.5, v3
	v_add_f16_e32 v3, v5, v34
	s_delay_alu instid0(VALU_DEP_3) | instskip(NEXT) | instid1(VALU_DEP_2)
	v_add_f16_e32 v2, v2, v31
	v_add_f16_e32 v3, v3, v33
	s_delay_alu instid0(VALU_DEP_1) | instskip(SKIP_3) | instid1(VALU_DEP_3)
	v_pack_b32_f16 v2, v3, v2
	v_fma_f16 v3, -0.5, v24, v5
	v_fmamk_f16 v24, v25, 0x3aee, v1
	v_fmac_f16_e32 v1, 0xbaee, v25
	v_fmamk_f16 v5, v4, 0xbaee, v3
	v_fmac_f16_e32 v3, 0x3aee, v4
	s_delay_alu instid0(VALU_DEP_2)
	v_pack_b32_f16 v5, v5, v24
	scratch_load_b32 v24, off, off offset:296 ; 4-byte Folded Reload
	v_pack_b32_f16 v1, v3, v1
	v_add_f16_e32 v3, v6, v21
	s_waitcnt vmcnt(0)
	ds_store_b32 v24, v1 offset:72
	v_add_f16_e32 v1, v21, v23
	ds_store_2addr_b32 v24, v2, v5 offset1:9
	v_lshrrev_b32_e32 v2, 16, v6
	v_fmac_f16_e32 v6, -0.5, v1
	v_sub_f16_e32 v1, v22, v32
	s_delay_alu instid0(VALU_DEP_3) | instskip(NEXT) | instid1(VALU_DEP_2)
	v_add_f16_e32 v5, v2, v22
	v_fmamk_f16 v4, v1, 0xbaee, v6
	v_fmac_f16_e32 v6, 0x3aee, v1
	v_add_f16_e32 v1, v22, v32
	s_delay_alu instid0(VALU_DEP_1) | instskip(SKIP_1) | instid1(VALU_DEP_1)
	v_fmac_f16_e32 v2, -0.5, v1
	v_sub_f16_e32 v1, v21, v23
	v_fmamk_f16 v21, v1, 0x3aee, v2
	v_fmac_f16_e32 v2, 0xbaee, v1
	s_delay_alu instid0(VALU_DEP_1) | instskip(SKIP_4) | instid1(VALU_DEP_3)
	v_pack_b32_f16 v1, v6, v2
	v_add_f16_e32 v2, v3, v23
	v_add_f16_e32 v3, v5, v32
	;; [unrolled: 1-line block ×3, first 2 shown]
	v_sub_f16_e32 v6, v18, v17
	v_pack_b32_f16 v2, v2, v3
	v_pack_b32_f16 v3, v4, v21
	scratch_load_b32 v4, off, off offset:300 ; 4-byte Folded Reload
	s_waitcnt vmcnt(0)
	ds_store_2addr_b32 v4, v2, v3 offset1:9
	ds_store_b32 v4, v1 offset:72
	v_lshrrev_b32_e32 v1, 16, v7
	v_add_f16_e32 v3, v19, v20
	v_sub_f16_e32 v4, v19, v20
	s_delay_alu instid0(VALU_DEP_3) | instskip(NEXT) | instid1(VALU_DEP_3)
	v_add_f16_e32 v2, v1, v19
	v_fmac_f16_e32 v1, -0.5, v3
	v_add_f16_e32 v3, v7, v18
	s_delay_alu instid0(VALU_DEP_3) | instskip(NEXT) | instid1(VALU_DEP_2)
	v_add_f16_e32 v2, v2, v20
	v_add_f16_e32 v3, v3, v17
	s_delay_alu instid0(VALU_DEP_1) | instskip(SKIP_3) | instid1(VALU_DEP_3)
	v_pack_b32_f16 v2, v3, v2
	v_fma_f16 v3, -0.5, v5, v7
	v_fmamk_f16 v7, v6, 0x3aee, v1
	v_fmac_f16_e32 v1, 0xbaee, v6
	v_fmamk_f16 v5, v4, 0xbaee, v3
	v_fmac_f16_e32 v3, 0x3aee, v4
	s_delay_alu instid0(VALU_DEP_2)
	v_pack_b32_f16 v5, v5, v7
	scratch_load_b32 v7, off, off offset:304 ; 4-byte Folded Reload
	v_pack_b32_f16 v1, v3, v1
	v_add_f16_e32 v3, v8, v13
	s_waitcnt vmcnt(0)
	ds_store_b32 v7, v1 offset:72
	v_add_f16_e32 v1, v13, v15
	ds_store_2addr_b32 v7, v2, v5 offset1:9
	v_lshrrev_b32_e32 v2, 16, v8
	v_lshrrev_b32_e32 v7, 16, v40
	v_fmac_f16_e32 v8, -0.5, v1
	v_sub_f16_e32 v1, v14, v16
	s_delay_alu instid0(VALU_DEP_4) | instskip(NEXT) | instid1(VALU_DEP_2)
	v_add_f16_e32 v5, v2, v14
	v_fmamk_f16 v4, v1, 0xbaee, v8
	v_fmac_f16_e32 v8, 0x3aee, v1
	v_add_f16_e32 v1, v14, v16
	s_delay_alu instid0(VALU_DEP_1) | instskip(SKIP_1) | instid1(VALU_DEP_1)
	v_fmac_f16_e32 v2, -0.5, v1
	v_sub_f16_e32 v1, v13, v15
	v_fmamk_f16 v6, v1, 0x3aee, v2
	v_fmac_f16_e32 v2, 0xbaee, v1
	s_delay_alu instid0(VALU_DEP_1) | instskip(SKIP_2) | instid1(VALU_DEP_1)
	v_pack_b32_f16 v1, v8, v2
	v_add_f16_e32 v2, v3, v15
	v_add_f16_e32 v3, v5, v16
	v_pack_b32_f16 v2, v2, v3
	v_pack_b32_f16 v3, v4, v6
	scratch_load_b32 v4, off, off offset:312 ; 4-byte Folded Reload
	s_waitcnt vmcnt(0)
	ds_store_2addr_b32 v4, v2, v3 offset1:9
	ds_store_b32 v4, v1 offset:72
	v_add_f16_e32 v1, v9, v11
	v_lshrrev_b32_e32 v2, 16, v0
	v_add_f16_e32 v3, v0, v9
	s_delay_alu instid0(VALU_DEP_3) | instskip(SKIP_1) | instid1(VALU_DEP_4)
	v_fmac_f16_e32 v0, -0.5, v1
	v_sub_f16_e32 v1, v10, v12
	v_add_f16_e32 v5, v2, v10
	s_delay_alu instid0(VALU_DEP_2) | instskip(SKIP_2) | instid1(VALU_DEP_1)
	v_fmamk_f16 v4, v1, 0xbaee, v0
	v_fmac_f16_e32 v0, 0x3aee, v1
	v_add_f16_e32 v1, v10, v12
	v_fmac_f16_e32 v2, -0.5, v1
	v_sub_f16_e32 v1, v9, v11
	s_delay_alu instid0(VALU_DEP_1)
	v_fmamk_f16 v6, v1, 0x3aee, v2
	v_fmac_f16_e32 v2, 0xbaee, v1
	v_add_f16_e32 v1, v3, v11
	scratch_load_b32 v3, off, off offset:308 ; 4-byte Folded Reload
	v_pack_b32_f16 v0, v0, v2
	v_add_f16_e32 v2, v5, v12
	s_delay_alu instid0(VALU_DEP_1)
	v_pack_b32_f16 v1, v1, v2
	v_pack_b32_f16 v2, v4, v6
	s_waitcnt vmcnt(0)
	ds_store_2addr_b32 v3, v1, v2 offset1:9
	ds_store_b32 v3, v0 offset:72
	s_waitcnt lgkmcnt(0)
	s_barrier
	buffer_gl0_inv
	ds_load_2addr_b32 v[0:1], v171 offset1:243
	s_waitcnt lgkmcnt(0)
	v_lshrrev_b32_e32 v2, 16, v1
	v_mul_f16_e64 v3, v204, v1
	s_delay_alu instid0(VALU_DEP_2) | instskip(NEXT) | instid1(VALU_DEP_2)
	v_mul_f16_e64 v9, v204, v2
	v_fma_f16 v10, v56, v2, -v3
	ds_load_b32 v2, v122 offset:25272
	v_fmac_f16_e32 v9, v56, v1
	v_lshrrev_b32_e32 v1, 16, v0
	s_delay_alu instid0(VALU_DEP_1) | instskip(NEXT) | instid1(VALU_DEP_1)
	v_mul_f16_e64 v13, v201, v1
	v_fmac_f16_e32 v13, v54, v0
	s_waitcnt lgkmcnt(0)
	v_lshrrev_b32_e32 v3, 16, v2
	v_mul_f16_e64 v4, v203, v2
	s_delay_alu instid0(VALU_DEP_2) | instskip(NEXT) | instid1(VALU_DEP_2)
	v_mul_f16_e64 v11, v203, v3
	v_fma_f16 v12, v57, v3, -v4
	s_delay_alu instid0(VALU_DEP_2) | instskip(SKIP_1) | instid1(VALU_DEP_1)
	v_fmac_f16_e32 v11, v57, v2
	v_mul_f16_e64 v2, v201, v0
	v_fma_f16 v14, v54, v1, -v2
	ds_load_2addr_b32 v[0:1], v146 offset0:8 offset1:251
	s_waitcnt lgkmcnt(0)
	v_lshrrev_b32_e32 v2, 16, v1
	v_mul_f16_e64 v3, v200, v1
	s_delay_alu instid0(VALU_DEP_2) | instskip(NEXT) | instid1(VALU_DEP_2)
	v_mul_f16_e64 v15, v200, v2
	v_fma_f16 v16, v55, v2, -v3
	v_lshrrev_b32_e32 v2, 16, v0
	v_mul_f16_e64 v3, v199, v0
	s_delay_alu instid0(VALU_DEP_4) | instskip(NEXT) | instid1(VALU_DEP_3)
	v_fmac_f16_e32 v15, v55, v1
	v_mul_f16_e64 v17, v199, v2
	s_delay_alu instid0(VALU_DEP_3) | instskip(NEXT) | instid1(VALU_DEP_2)
	v_fma_f16 v20, v53, v2, -v3
	v_fmac_f16_e32 v17, v53, v0
	ds_load_2addr_b32 v[0:1], v149 offset0:10 offset1:253
	s_waitcnt lgkmcnt(0)
	v_lshrrev_b32_e32 v4, 16, v1
	v_mul_f16_e64 v5, v198, v1
	v_mul_f16_e64 v2, v172, v0
	s_delay_alu instid0(VALU_DEP_3) | instskip(NEXT) | instid1(VALU_DEP_3)
	v_mul_f16_e64 v18, v198, v4
	v_fma_f16 v19, v52, v4, -v5
	s_delay_alu instid0(VALU_DEP_2) | instskip(SKIP_1) | instid1(VALU_DEP_1)
	v_fmac_f16_e32 v18, v52, v1
	v_lshrrev_b32_e32 v1, 16, v0
	v_mul_f16_e64 v21, v172, v1
	v_fma_f16 v22, v50, v1, -v2
	s_delay_alu instid0(VALU_DEP_2) | instskip(SKIP_4) | instid1(VALU_DEP_2)
	v_fmac_f16_e32 v21, v50, v0
	ds_load_2addr_b32 v[0:1], v161 offset0:2 offset1:245
	s_waitcnt lgkmcnt(0)
	v_lshrrev_b32_e32 v2, 16, v1
	v_mul_f16_e64 v3, v190, v1
	v_mul_f16_e64 v23, v190, v2
	s_delay_alu instid0(VALU_DEP_2) | instskip(SKIP_2) | instid1(VALU_DEP_4)
	v_fma_f16 v24, v51, v2, -v3
	v_lshrrev_b32_e32 v2, 16, v0
	v_mul_f16_e64 v3, v184, v0
	v_fmac_f16_e32 v23, v51, v1
	s_delay_alu instid0(VALU_DEP_3) | instskip(NEXT) | instid1(VALU_DEP_3)
	v_mul_f16_e64 v25, v184, v2
	v_fma_f16 v28, v49, v2, -v3
	v_lshrrev_b32_e32 v2, 16, v46
	s_delay_alu instid0(VALU_DEP_3) | instskip(SKIP_4) | instid1(VALU_DEP_2)
	v_fmac_f16_e32 v25, v49, v0
	ds_load_2addr_b32 v[0:1], v163 offset0:4 offset1:247
	s_waitcnt lgkmcnt(0)
	v_lshrrev_b32_e32 v4, 16, v1
	v_mul_f16_e64 v5, v150, v1
	v_mul_f16_e64 v26, v150, v4
	s_delay_alu instid0(VALU_DEP_2) | instskip(NEXT) | instid1(VALU_DEP_2)
	v_fma_f16 v27, v48, v4, -v5
	v_fmac_f16_e32 v26, v48, v1
	v_lshrrev_b32_e32 v1, 16, v0
	s_delay_alu instid0(VALU_DEP_1) | instskip(SKIP_1) | instid1(VALU_DEP_2)
	v_mul_f16_e32 v29, v2, v1
	v_mul_f16_e32 v2, v2, v0
	v_fmac_f16_e32 v29, v46, v0
	s_delay_alu instid0(VALU_DEP_2) | instskip(SKIP_4) | instid1(VALU_DEP_2)
	v_fma_f16 v30, v46, v1, -v2
	ds_load_2addr_b32 v[0:1], v181 offset0:12 offset1:255
	s_waitcnt lgkmcnt(0)
	v_lshrrev_b32_e32 v2, 16, v1
	v_mul_f16_e64 v3, v160, v1
	v_mul_f16_e64 v31, v160, v2
	s_delay_alu instid0(VALU_DEP_2) | instskip(SKIP_1) | instid1(VALU_DEP_3)
	v_fma_f16 v32, v47, v2, -v3
	v_lshrrev_b32_e32 v2, 16, v0
	v_fmac_f16_e32 v31, v47, v1
	v_lshrrev_b32_e32 v1, 16, v45
	s_delay_alu instid0(VALU_DEP_1) | instskip(SKIP_1) | instid1(VALU_DEP_2)
	v_mul_f16_e32 v33, v1, v2
	v_mul_f16_e32 v3, v1, v0
	v_fmac_f16_e32 v33, v45, v0
	ds_load_2addr_b32 v[0:1], v179 offset0:6 offset1:249
	v_fma_f16 v36, v45, v2, -v3
	s_waitcnt lgkmcnt(0)
	v_lshrrev_b32_e32 v4, 16, v1
	v_mul_f16_e64 v5, v162, v1
	v_mul_f16_e64 v2, v168, v0
	s_delay_alu instid0(VALU_DEP_3) | instskip(NEXT) | instid1(VALU_DEP_3)
	v_mul_f16_e64 v34, v162, v4
	v_fma_f16 v35, v44, v4, -v5
	v_lshrrev_b32_e32 v4, 16, v43
	s_delay_alu instid0(VALU_DEP_3) | instskip(SKIP_1) | instid1(VALU_DEP_1)
	v_fmac_f16_e32 v34, v44, v1
	v_lshrrev_b32_e32 v1, 16, v0
	v_mul_f16_e64 v37, v168, v1
	v_fma_f16 v38, v42, v1, -v2
	s_delay_alu instid0(VALU_DEP_2) | instskip(SKIP_4) | instid1(VALU_DEP_2)
	v_fmac_f16_e32 v37, v42, v0
	ds_load_2addr_b32 v[0:1], v187 offset0:6 offset1:249
	s_waitcnt lgkmcnt(0)
	v_lshrrev_b32_e32 v2, 16, v1
	v_mul_f16_e32 v3, v4, v1
	v_mul_f16_e32 v39, v4, v2
	s_delay_alu instid0(VALU_DEP_2) | instskip(SKIP_2) | instid1(VALU_DEP_4)
	v_fma_f16 v42, v43, v2, -v3
	v_lshrrev_b32_e32 v2, 16, v0
	v_mul_f16_e64 v4, v192, v0
	v_fmac_f16_e32 v39, v43, v1
	s_delay_alu instid0(VALU_DEP_3) | instskip(NEXT) | instid1(VALU_DEP_3)
	v_mul_f16_e64 v3, v192, v2
	v_fma_f16 v4, v41, v2, -v4
	s_delay_alu instid0(VALU_DEP_2) | instskip(SKIP_4) | instid1(VALU_DEP_2)
	v_fmac_f16_e32 v3, v41, v0
	ds_load_2addr_b32 v[0:1], v188 offset0:8 offset1:251
	s_waitcnt lgkmcnt(0)
	v_lshrrev_b32_e32 v5, 16, v1
	v_mul_f16_e32 v6, v7, v1
	v_mul_f16_e32 v7, v7, v5
	s_delay_alu instid0(VALU_DEP_2) | instskip(NEXT) | instid1(VALU_DEP_2)
	v_fma_f16 v5, v40, v5, -v6
	v_fmac_f16_e32 v7, v40, v1
	ds_load_2addr_b32 v[1:2], v122 offset1:243
	v_add_f16_e32 v8, v5, v4
	v_sub_f16_e32 v41, v5, v4
	v_sub_f16_e32 v43, v7, v3
	s_waitcnt lgkmcnt(0)
	v_lshrrev_b32_e32 v40, 16, v1
	s_delay_alu instid0(VALU_DEP_1) | instskip(SKIP_2) | instid1(VALU_DEP_3)
	v_add_f16_e32 v6, v40, v5
	v_add_f16_e32 v5, v1, v7
	v_fmac_f16_e32 v40, -0.5, v8
	v_add_f16_e32 v4, v6, v4
	v_add_f16_e32 v6, v7, v3
	s_delay_alu instid0(VALU_DEP_4) | instskip(NEXT) | instid1(VALU_DEP_2)
	v_add_f16_e32 v5, v5, v3
	v_fma_f16 v1, -0.5, v6, v1
	s_delay_alu instid0(VALU_DEP_2) | instskip(SKIP_2) | instid1(VALU_DEP_4)
	v_pack_b32_f16 v44, v5, v4
	v_fmamk_f16 v4, v43, 0x3aee, v40
	v_fmac_f16_e32 v40, 0xbaee, v43
	v_fmamk_f16 v3, v41, 0xbaee, v1
	v_fmac_f16_e32 v1, 0x3aee, v41
	v_add_f16_e32 v41, v2, v37
	s_delay_alu instid0(VALU_DEP_3)
	v_pack_b32_f16 v45, v3, v4
	ds_load_2addr_b32 v[3:4], v176 offset0:6 offset1:249
	ds_load_2addr_b32 v[5:6], v159 offset0:12 offset1:255
	;; [unrolled: 1-line block ×3, first 2 shown]
	s_waitcnt lgkmcnt(0)
	s_barrier
	buffer_gl0_inv
	scratch_load_b32 v46, off, off offset:316 ; 4-byte Folded Reload
	v_pack_b32_f16 v1, v1, v40
	v_lshrrev_b32_e32 v40, 16, v2
	s_waitcnt vmcnt(0)
	ds_store_b32 v46, v1 offset:216
	v_add_f16_e32 v1, v37, v39
	ds_store_2addr_b32 v46, v44, v45 offset1:27
	v_fmac_f16_e32 v2, -0.5, v1
	v_sub_f16_e32 v1, v38, v42
	s_delay_alu instid0(VALU_DEP_1) | instskip(SKIP_3) | instid1(VALU_DEP_2)
	v_fmamk_f16 v43, v1, 0xbaee, v2
	v_fmac_f16_e32 v2, 0x3aee, v1
	v_add_f16_e32 v1, v38, v42
	v_add_f16_e32 v38, v40, v38
	v_fmac_f16_e32 v40, -0.5, v1
	v_sub_f16_e32 v1, v37, v39
	s_delay_alu instid0(VALU_DEP_3) | instskip(NEXT) | instid1(VALU_DEP_2)
	v_add_f16_e32 v38, v38, v42
	v_fmamk_f16 v37, v1, 0x3aee, v40
	v_fmac_f16_e32 v40, 0xbaee, v1
	s_delay_alu instid0(VALU_DEP_2) | instskip(NEXT) | instid1(VALU_DEP_2)
	v_pack_b32_f16 v37, v43, v37
	v_pack_b32_f16 v1, v2, v40
	v_add_f16_e32 v2, v41, v39
	s_delay_alu instid0(VALU_DEP_1)
	v_pack_b32_f16 v2, v2, v38
	scratch_load_b32 v38, off, off offset:320 ; 4-byte Folded Reload
	s_waitcnt vmcnt(0)
	ds_store_2addr_b32 v38, v2, v37 offset1:27
	ds_store_b32 v38, v1 offset:216
	v_lshrrev_b32_e32 v1, 16, v3
	v_add_f16_e32 v37, v35, v36
	s_delay_alu instid0(VALU_DEP_2) | instskip(SKIP_1) | instid1(VALU_DEP_3)
	v_add_f16_e32 v2, v1, v35
	v_sub_f16_e32 v35, v35, v36
	v_fmac_f16_e32 v1, -0.5, v37
	v_add_f16_e32 v37, v34, v33
	s_delay_alu instid0(VALU_DEP_4) | instskip(SKIP_1) | instid1(VALU_DEP_3)
	v_add_f16_e32 v2, v2, v36
	v_add_f16_e32 v36, v3, v34
	v_fma_f16 v3, -0.5, v37, v3
	s_delay_alu instid0(VALU_DEP_2) | instskip(SKIP_1) | instid1(VALU_DEP_3)
	v_add_f16_e32 v36, v36, v33
	v_sub_f16_e32 v33, v34, v33
	v_fmamk_f16 v34, v35, 0xbaee, v3
	v_fmac_f16_e32 v3, 0x3aee, v35
	s_delay_alu instid0(VALU_DEP_4) | instskip(NEXT) | instid1(VALU_DEP_4)
	v_pack_b32_f16 v2, v36, v2
	v_fmamk_f16 v36, v33, 0x3aee, v1
	v_fmac_f16_e32 v1, 0xbaee, v33
	s_delay_alu instid0(VALU_DEP_2)
	v_pack_b32_f16 v34, v34, v36
	scratch_load_b32 v36, off, off offset:324 ; 4-byte Folded Reload
	v_pack_b32_f16 v1, v3, v1
	v_add_f16_e32 v3, v4, v29
	s_waitcnt vmcnt(0)
	ds_store_b32 v36, v1 offset:216
	v_add_f16_e32 v1, v29, v31
	ds_store_2addr_b32 v36, v2, v34 offset1:27
	v_lshrrev_b32_e32 v2, 16, v4
	v_fmac_f16_e32 v4, -0.5, v1
	v_sub_f16_e32 v1, v30, v32
	s_delay_alu instid0(VALU_DEP_1) | instskip(SKIP_3) | instid1(VALU_DEP_2)
	v_fmamk_f16 v33, v1, 0xbaee, v4
	v_fmac_f16_e32 v4, 0x3aee, v1
	v_add_f16_e32 v1, v30, v32
	v_add_f16_e32 v30, v2, v30
	v_fmac_f16_e32 v2, -0.5, v1
	v_sub_f16_e32 v1, v29, v31
	s_delay_alu instid0(VALU_DEP_1) | instskip(SKIP_1) | instid1(VALU_DEP_1)
	v_fmamk_f16 v29, v1, 0x3aee, v2
	v_fmac_f16_e32 v2, 0xbaee, v1
	v_pack_b32_f16 v1, v4, v2
	scratch_load_b32 v4, off, off offset:328 ; 4-byte Folded Reload
	v_add_f16_e32 v2, v3, v31
	v_add_f16_e32 v3, v30, v32
	s_delay_alu instid0(VALU_DEP_1)
	v_pack_b32_f16 v2, v2, v3
	v_pack_b32_f16 v3, v33, v29
	s_waitcnt vmcnt(0)
	ds_store_2addr_b32 v4, v2, v3 offset1:27
	ds_store_b32 v4, v1 offset:216
	v_lshrrev_b32_e32 v1, 16, v5
	v_add_f16_e32 v3, v27, v28
	v_sub_f16_e32 v4, v27, v28
	s_delay_alu instid0(VALU_DEP_3) | instskip(NEXT) | instid1(VALU_DEP_3)
	v_add_f16_e32 v2, v1, v27
	v_fmac_f16_e32 v1, -0.5, v3
	v_add_f16_e32 v3, v5, v26
	v_add_f16_e32 v27, v26, v25
	s_delay_alu instid0(VALU_DEP_4) | instskip(NEXT) | instid1(VALU_DEP_3)
	v_add_f16_e32 v2, v2, v28
	v_add_f16_e32 v3, v3, v25
	v_sub_f16_e32 v25, v26, v25
	s_delay_alu instid0(VALU_DEP_2) | instskip(SKIP_1) | instid1(VALU_DEP_3)
	v_pack_b32_f16 v2, v3, v2
	v_fma_f16 v3, -0.5, v27, v5
	v_fmamk_f16 v26, v25, 0x3aee, v1
	v_fmac_f16_e32 v1, 0xbaee, v25
	s_delay_alu instid0(VALU_DEP_3) | instskip(SKIP_1) | instid1(VALU_DEP_2)
	v_fmamk_f16 v5, v4, 0xbaee, v3
	v_fmac_f16_e32 v3, 0x3aee, v4
	v_pack_b32_f16 v5, v5, v26
	scratch_load_b32 v26, off, off offset:332 ; 4-byte Folded Reload
	v_pack_b32_f16 v1, v3, v1
	v_add_f16_e32 v3, v6, v21
	s_waitcnt vmcnt(0)
	ds_store_b32 v26, v1 offset:216
	v_add_f16_e32 v1, v21, v23
	ds_store_2addr_b32 v26, v2, v5 offset1:27
	v_lshrrev_b32_e32 v2, 16, v6
	v_fmac_f16_e32 v6, -0.5, v1
	v_sub_f16_e32 v1, v22, v24
	s_delay_alu instid0(VALU_DEP_3) | instskip(NEXT) | instid1(VALU_DEP_2)
	v_add_f16_e32 v5, v2, v22
	v_fmamk_f16 v4, v1, 0xbaee, v6
	v_fmac_f16_e32 v6, 0x3aee, v1
	v_add_f16_e32 v1, v22, v24
	s_delay_alu instid0(VALU_DEP_1) | instskip(SKIP_1) | instid1(VALU_DEP_1)
	v_fmac_f16_e32 v2, -0.5, v1
	v_sub_f16_e32 v1, v21, v23
	v_fmamk_f16 v21, v1, 0x3aee, v2
	v_fmac_f16_e32 v2, 0xbaee, v1
	s_delay_alu instid0(VALU_DEP_1) | instskip(SKIP_4) | instid1(VALU_DEP_3)
	v_pack_b32_f16 v1, v6, v2
	v_add_f16_e32 v2, v3, v23
	v_add_f16_e32 v3, v5, v24
	;; [unrolled: 1-line block ×3, first 2 shown]
	v_sub_f16_e32 v6, v18, v17
	v_pack_b32_f16 v2, v2, v3
	v_pack_b32_f16 v3, v4, v21
	scratch_load_b32 v4, off, off offset:336 ; 4-byte Folded Reload
	s_waitcnt vmcnt(0)
	ds_store_2addr_b32 v4, v2, v3 offset1:27
	ds_store_b32 v4, v1 offset:216
	v_lshrrev_b32_e32 v1, 16, v7
	v_add_f16_e32 v3, v19, v20
	v_sub_f16_e32 v4, v19, v20
	s_delay_alu instid0(VALU_DEP_3) | instskip(NEXT) | instid1(VALU_DEP_3)
	v_add_f16_e32 v2, v1, v19
	v_fmac_f16_e32 v1, -0.5, v3
	v_add_f16_e32 v3, v7, v18
	s_delay_alu instid0(VALU_DEP_3) | instskip(NEXT) | instid1(VALU_DEP_2)
	v_add_f16_e32 v2, v2, v20
	v_add_f16_e32 v3, v3, v17
	s_delay_alu instid0(VALU_DEP_1) | instskip(SKIP_3) | instid1(VALU_DEP_3)
	v_pack_b32_f16 v2, v3, v2
	v_fma_f16 v3, -0.5, v5, v7
	v_fmamk_f16 v7, v6, 0x3aee, v1
	v_fmac_f16_e32 v1, 0xbaee, v6
	v_fmamk_f16 v5, v4, 0xbaee, v3
	v_fmac_f16_e32 v3, 0x3aee, v4
	s_delay_alu instid0(VALU_DEP_2)
	v_pack_b32_f16 v5, v5, v7
	scratch_load_b32 v7, off, off offset:340 ; 4-byte Folded Reload
	v_pack_b32_f16 v1, v3, v1
	v_add_f16_e32 v3, v8, v13
	s_waitcnt vmcnt(0)
	ds_store_b32 v7, v1 offset:216
	v_add_f16_e32 v1, v13, v15
	ds_store_2addr_b32 v7, v2, v5 offset1:27
	v_lshrrev_b32_e32 v2, 16, v8
	v_fmac_f16_e32 v8, -0.5, v1
	v_sub_f16_e32 v1, v14, v16
	s_delay_alu instid0(VALU_DEP_3) | instskip(NEXT) | instid1(VALU_DEP_2)
	v_add_f16_e32 v5, v2, v14
	v_fmamk_f16 v4, v1, 0xbaee, v8
	v_fmac_f16_e32 v8, 0x3aee, v1
	v_add_f16_e32 v1, v14, v16
	s_delay_alu instid0(VALU_DEP_1) | instskip(SKIP_1) | instid1(VALU_DEP_1)
	v_fmac_f16_e32 v2, -0.5, v1
	v_sub_f16_e32 v1, v13, v15
	v_fmamk_f16 v6, v1, 0x3aee, v2
	v_fmac_f16_e32 v2, 0xbaee, v1
	s_delay_alu instid0(VALU_DEP_1) | instskip(SKIP_2) | instid1(VALU_DEP_1)
	v_pack_b32_f16 v1, v8, v2
	v_add_f16_e32 v2, v3, v15
	v_add_f16_e32 v3, v5, v16
	v_pack_b32_f16 v2, v2, v3
	v_pack_b32_f16 v3, v4, v6
	scratch_load_b32 v4, off, off offset:344 ; 4-byte Folded Reload
	s_waitcnt vmcnt(0)
	ds_store_2addr_b32 v4, v2, v3 offset1:27
	ds_store_b32 v4, v1 offset:216
	v_add_f16_e32 v1, v9, v11
	v_lshrrev_b32_e32 v2, 16, v0
	v_add_f16_e32 v3, v0, v9
	s_delay_alu instid0(VALU_DEP_3) | instskip(SKIP_1) | instid1(VALU_DEP_4)
	v_fmac_f16_e32 v0, -0.5, v1
	v_sub_f16_e32 v1, v10, v12
	v_add_f16_e32 v5, v2, v10
	s_delay_alu instid0(VALU_DEP_2) | instskip(SKIP_2) | instid1(VALU_DEP_1)
	v_fmamk_f16 v4, v1, 0xbaee, v0
	v_fmac_f16_e32 v0, 0x3aee, v1
	v_add_f16_e32 v1, v10, v12
	v_fmac_f16_e32 v2, -0.5, v1
	v_sub_f16_e32 v1, v9, v11
	s_delay_alu instid0(VALU_DEP_1)
	v_fmamk_f16 v6, v1, 0x3aee, v2
	v_fmac_f16_e32 v2, 0xbaee, v1
	v_add_f16_e32 v1, v3, v11
	scratch_load_b32 v3, off, off offset:348 ; 4-byte Folded Reload
	v_pack_b32_f16 v0, v0, v2
	v_add_f16_e32 v2, v5, v12
	s_delay_alu instid0(VALU_DEP_1)
	v_pack_b32_f16 v1, v1, v2
	v_pack_b32_f16 v2, v4, v6
	s_waitcnt vmcnt(0)
	ds_store_2addr_b32 v3, v1, v2 offset1:27
	ds_store_b32 v3, v0 offset:216
	s_waitcnt lgkmcnt(0)
	s_barrier
	buffer_gl0_inv
	ds_load_2addr_b32 v[0:1], v171 offset1:243
	s_waitcnt lgkmcnt(0)
	v_lshrrev_b32_e32 v2, 16, v1
	v_mul_f16_e64 v3, v221, v1
	s_delay_alu instid0(VALU_DEP_2) | instskip(NEXT) | instid1(VALU_DEP_2)
	v_mul_f16_e64 v9, v221, v2
	v_fma_f16 v10, v74, v2, -v3
	ds_load_b32 v2, v122 offset:25272
	v_fmac_f16_e32 v9, v74, v1
	v_lshrrev_b32_e32 v1, 16, v0
	s_delay_alu instid0(VALU_DEP_1) | instskip(NEXT) | instid1(VALU_DEP_1)
	v_mul_f16_e64 v13, v218, v1
	v_fmac_f16_e32 v13, v72, v0
	s_waitcnt lgkmcnt(0)
	v_lshrrev_b32_e32 v3, 16, v2
	v_mul_f16_e64 v4, v220, v2
	s_delay_alu instid0(VALU_DEP_2) | instskip(NEXT) | instid1(VALU_DEP_2)
	v_mul_f16_e64 v11, v220, v3
	v_fma_f16 v12, v75, v3, -v4
	s_delay_alu instid0(VALU_DEP_2) | instskip(SKIP_1) | instid1(VALU_DEP_1)
	v_fmac_f16_e32 v11, v75, v2
	v_mul_f16_e64 v2, v218, v0
	v_fma_f16 v14, v72, v1, -v2
	ds_load_2addr_b32 v[0:1], v146 offset0:8 offset1:251
	s_waitcnt lgkmcnt(0)
	v_lshrrev_b32_e32 v2, 16, v1
	v_mul_f16_e64 v3, v217, v1
	s_delay_alu instid0(VALU_DEP_2) | instskip(NEXT) | instid1(VALU_DEP_2)
	v_mul_f16_e64 v15, v217, v2
	v_fma_f16 v16, v73, v2, -v3
	v_lshrrev_b32_e32 v2, 16, v0
	v_mul_f16_e64 v3, v152, v0
	s_delay_alu instid0(VALU_DEP_4) | instskip(NEXT) | instid1(VALU_DEP_3)
	v_fmac_f16_e32 v15, v73, v1
	v_mul_f16_e64 v17, v152, v2
	s_delay_alu instid0(VALU_DEP_3) | instskip(NEXT) | instid1(VALU_DEP_2)
	v_fma_f16 v20, v71, v2, -v3
	v_fmac_f16_e32 v17, v71, v0
	ds_load_2addr_b32 v[0:1], v149 offset0:10 offset1:253
	s_waitcnt lgkmcnt(0)
	v_lshrrev_b32_e32 v4, 16, v1
	v_mul_f16_e64 v5, v216, v1
	v_mul_f16_e64 v2, v213, v0
	s_delay_alu instid0(VALU_DEP_3) | instskip(NEXT) | instid1(VALU_DEP_3)
	v_mul_f16_e64 v18, v216, v4
	v_fma_f16 v19, v70, v4, -v5
	s_delay_alu instid0(VALU_DEP_2) | instskip(SKIP_1) | instid1(VALU_DEP_1)
	v_fmac_f16_e32 v18, v70, v1
	v_lshrrev_b32_e32 v1, 16, v0
	v_mul_f16_e64 v21, v213, v1
	v_fma_f16 v22, v68, v1, -v2
	s_delay_alu instid0(VALU_DEP_2) | instskip(SKIP_4) | instid1(VALU_DEP_2)
	v_fmac_f16_e32 v21, v68, v0
	ds_load_2addr_b32 v[0:1], v161 offset0:2 offset1:245
	s_waitcnt lgkmcnt(0)
	v_lshrrev_b32_e32 v2, 16, v1
	v_mul_f16_e64 v3, v210, v1
	v_mul_f16_e64 v23, v210, v2
	s_delay_alu instid0(VALU_DEP_2) | instskip(SKIP_2) | instid1(VALU_DEP_4)
	v_fma_f16 v24, v69, v2, -v3
	v_lshrrev_b32_e32 v2, 16, v0
	v_mul_f16_e64 v3, v151, v0
	v_fmac_f16_e32 v23, v69, v1
	s_delay_alu instid0(VALU_DEP_3) | instskip(NEXT) | instid1(VALU_DEP_3)
	v_mul_f16_e64 v25, v151, v2
	v_fma_f16 v28, v67, v2, -v3
	s_delay_alu instid0(VALU_DEP_2)
	v_fmac_f16_e32 v25, v67, v0
	ds_load_2addr_b32 v[0:1], v163 offset0:4 offset1:247
	s_waitcnt lgkmcnt(0)
	v_lshrrev_b32_e32 v4, 16, v1
	v_mul_f16_e64 v5, v209, v1
	v_mul_f16_e64 v2, v208, v0
	s_delay_alu instid0(VALU_DEP_3) | instskip(NEXT) | instid1(VALU_DEP_3)
	v_mul_f16_e64 v26, v209, v4
	v_fma_f16 v27, v66, v4, -v5
	s_delay_alu instid0(VALU_DEP_2) | instskip(SKIP_1) | instid1(VALU_DEP_1)
	v_fmac_f16_e32 v26, v66, v1
	v_lshrrev_b32_e32 v1, 16, v0
	v_mul_f16_e64 v29, v208, v1
	v_fma_f16 v30, v64, v1, -v2
	s_delay_alu instid0(VALU_DEP_2) | instskip(SKIP_4) | instid1(VALU_DEP_2)
	v_fmac_f16_e32 v29, v64, v0
	ds_load_2addr_b32 v[0:1], v181 offset0:12 offset1:255
	s_waitcnt lgkmcnt(0)
	v_lshrrev_b32_e32 v2, 16, v1
	v_mul_f16_e64 v3, v207, v1
	v_mul_f16_e64 v31, v207, v2
	s_delay_alu instid0(VALU_DEP_2) | instskip(SKIP_2) | instid1(VALU_DEP_4)
	v_fma_f16 v32, v65, v2, -v3
	v_lshrrev_b32_e32 v2, 16, v0
	v_mul_f16_e64 v3, v206, v0
	v_fmac_f16_e32 v31, v65, v1
	s_delay_alu instid0(VALU_DEP_3) | instskip(NEXT) | instid1(VALU_DEP_3)
	v_mul_f16_e64 v33, v206, v2
	v_fma_f16 v36, v63, v2, -v3
	s_delay_alu instid0(VALU_DEP_2)
	v_fmac_f16_e32 v33, v63, v0
	ds_load_2addr_b32 v[0:1], v179 offset0:6 offset1:249
	s_waitcnt lgkmcnt(0)
	v_lshrrev_b32_e32 v4, 16, v1
	v_mul_f16_e64 v5, v205, v1
	v_mul_f16_e64 v2, v169, v0
	s_delay_alu instid0(VALU_DEP_3) | instskip(NEXT) | instid1(VALU_DEP_3)
	v_mul_f16_e64 v34, v205, v4
	v_fma_f16 v35, v62, v4, -v5
	s_delay_alu instid0(VALU_DEP_2) | instskip(SKIP_1) | instid1(VALU_DEP_1)
	v_fmac_f16_e32 v34, v62, v1
	v_lshrrev_b32_e32 v1, 16, v0
	v_mul_f16_e64 v37, v169, v1
	v_fma_f16 v38, v60, v1, -v2
	s_delay_alu instid0(VALU_DEP_2)
	v_fmac_f16_e32 v37, v60, v0
	ds_load_2addr_b32 v[0:1], v187 offset0:6 offset1:249
	s_waitcnt lgkmcnt(0)
	v_lshrrev_b32_e32 v2, 16, v1
	v_mul_f16_e64 v3, v202, v1
	v_mul_f16_e64 v4, v195, v0
	s_delay_alu instid0(VALU_DEP_3) | instskip(NEXT) | instid1(VALU_DEP_3)
	v_mul_f16_e64 v39, v202, v2
	v_fma_f16 v40, v61, v2, -v3
	v_lshrrev_b32_e32 v2, 16, v0
	s_delay_alu instid0(VALU_DEP_3) | instskip(NEXT) | instid1(VALU_DEP_2)
	v_fmac_f16_e32 v39, v61, v1
	v_mul_f16_e64 v3, v195, v2
	v_fma_f16 v4, v59, v2, -v4
	s_delay_alu instid0(VALU_DEP_2) | instskip(SKIP_4) | instid1(VALU_DEP_2)
	v_fmac_f16_e32 v3, v59, v0
	ds_load_2addr_b32 v[0:1], v188 offset0:8 offset1:251
	s_waitcnt lgkmcnt(0)
	v_lshrrev_b32_e32 v5, 16, v1
	v_mul_f16_e64 v6, v173, v1
	v_mul_f16_e64 v7, v173, v5
	s_delay_alu instid0(VALU_DEP_2) | instskip(NEXT) | instid1(VALU_DEP_2)
	v_fma_f16 v5, v58, v5, -v6
	v_fmac_f16_e32 v7, v58, v1
	ds_load_2addr_b32 v[1:2], v122 offset1:243
	v_add_f16_e32 v8, v5, v4
	v_sub_f16_e32 v42, v5, v4
	v_sub_f16_e32 v43, v7, v3
	s_waitcnt lgkmcnt(0)
	v_lshrrev_b32_e32 v41, 16, v1
	s_delay_alu instid0(VALU_DEP_1) | instskip(SKIP_2) | instid1(VALU_DEP_3)
	v_add_f16_e32 v6, v41, v5
	v_add_f16_e32 v5, v1, v7
	v_fmac_f16_e32 v41, -0.5, v8
	v_add_f16_e32 v4, v6, v4
	v_add_f16_e32 v6, v7, v3
	s_delay_alu instid0(VALU_DEP_4) | instskip(NEXT) | instid1(VALU_DEP_2)
	v_add_f16_e32 v5, v5, v3
	v_fma_f16 v1, -0.5, v6, v1
	s_delay_alu instid0(VALU_DEP_2) | instskip(SKIP_2) | instid1(VALU_DEP_4)
	v_pack_b32_f16 v44, v5, v4
	v_fmamk_f16 v4, v43, 0x3aee, v41
	v_fmac_f16_e32 v41, 0xbaee, v43
	v_fmamk_f16 v3, v42, 0xbaee, v1
	v_fmac_f16_e32 v1, 0x3aee, v42
	v_add_f16_e32 v42, v2, v37
	s_delay_alu instid0(VALU_DEP_3)
	v_pack_b32_f16 v45, v3, v4
	ds_load_2addr_b32 v[3:4], v176 offset0:6 offset1:249
	ds_load_2addr_b32 v[5:6], v159 offset0:12 offset1:255
	;; [unrolled: 1-line block ×3, first 2 shown]
	s_waitcnt lgkmcnt(0)
	s_barrier
	buffer_gl0_inv
	scratch_load_b32 v46, off, off offset:352 ; 4-byte Folded Reload
	v_pack_b32_f16 v1, v1, v41
	v_lshrrev_b32_e32 v41, 16, v2
	s_waitcnt vmcnt(0)
	ds_store_b32 v46, v1 offset:648
	v_add_f16_e32 v1, v37, v39
	ds_store_2addr_b32 v46, v44, v45 offset1:81
	v_fmac_f16_e32 v2, -0.5, v1
	v_sub_f16_e32 v1, v38, v40
	s_delay_alu instid0(VALU_DEP_1) | instskip(SKIP_3) | instid1(VALU_DEP_2)
	v_fmamk_f16 v43, v1, 0xbaee, v2
	v_fmac_f16_e32 v2, 0x3aee, v1
	v_add_f16_e32 v1, v38, v40
	v_add_f16_e32 v38, v41, v38
	v_fmac_f16_e32 v41, -0.5, v1
	v_sub_f16_e32 v1, v37, v39
	s_delay_alu instid0(VALU_DEP_3) | instskip(NEXT) | instid1(VALU_DEP_2)
	v_add_f16_e32 v38, v38, v40
	v_fmamk_f16 v37, v1, 0x3aee, v41
	v_fmac_f16_e32 v41, 0xbaee, v1
	s_delay_alu instid0(VALU_DEP_2) | instskip(NEXT) | instid1(VALU_DEP_2)
	v_pack_b32_f16 v37, v43, v37
	v_pack_b32_f16 v1, v2, v41
	v_add_f16_e32 v2, v42, v39
	s_delay_alu instid0(VALU_DEP_1) | instskip(SKIP_4) | instid1(VALU_DEP_2)
	v_pack_b32_f16 v2, v2, v38
	ds_store_2addr_b32 v158, v2, v37 offset1:81
	ds_store_b32 v158, v1 offset:648
	v_lshrrev_b32_e32 v1, 16, v3
	v_add_f16_e32 v37, v35, v36
	v_add_f16_e32 v2, v1, v35
	v_sub_f16_e32 v35, v35, v36
	s_delay_alu instid0(VALU_DEP_3) | instskip(SKIP_1) | instid1(VALU_DEP_4)
	v_fmac_f16_e32 v1, -0.5, v37
	v_add_f16_e32 v37, v34, v33
	v_add_f16_e32 v2, v2, v36
	;; [unrolled: 1-line block ×3, first 2 shown]
	s_delay_alu instid0(VALU_DEP_3) | instskip(NEXT) | instid1(VALU_DEP_2)
	v_fma_f16 v3, -0.5, v37, v3
	v_add_f16_e32 v36, v36, v33
	v_sub_f16_e32 v33, v34, v33
	s_delay_alu instid0(VALU_DEP_3) | instskip(SKIP_1) | instid1(VALU_DEP_4)
	v_fmamk_f16 v34, v35, 0xbaee, v3
	v_fmac_f16_e32 v3, 0x3aee, v35
	v_pack_b32_f16 v2, v36, v2
	s_delay_alu instid0(VALU_DEP_4) | instskip(SKIP_1) | instid1(VALU_DEP_2)
	v_fmamk_f16 v36, v33, 0x3aee, v1
	v_fmac_f16_e32 v1, 0xbaee, v33
	v_pack_b32_f16 v34, v34, v36
	s_delay_alu instid0(VALU_DEP_2)
	v_pack_b32_f16 v1, v3, v1
	v_add_f16_e32 v3, v4, v29
	ds_store_2addr_b32 v175, v2, v34 offset1:81
	ds_store_b32 v175, v1 offset:648
	v_add_f16_e32 v1, v29, v31
	v_lshrrev_b32_e32 v2, 16, v4
	s_delay_alu instid0(VALU_DEP_2) | instskip(SKIP_1) | instid1(VALU_DEP_1)
	v_fmac_f16_e32 v4, -0.5, v1
	v_sub_f16_e32 v1, v30, v32
	v_fmamk_f16 v33, v1, 0xbaee, v4
	v_fmac_f16_e32 v4, 0x3aee, v1
	v_add_f16_e32 v1, v30, v32
	v_add_f16_e32 v30, v2, v30
	s_delay_alu instid0(VALU_DEP_2) | instskip(SKIP_1) | instid1(VALU_DEP_1)
	v_fmac_f16_e32 v2, -0.5, v1
	v_sub_f16_e32 v1, v29, v31
	v_fmamk_f16 v29, v1, 0x3aee, v2
	v_fmac_f16_e32 v2, 0xbaee, v1
	s_delay_alu instid0(VALU_DEP_1) | instskip(SKIP_3) | instid1(VALU_DEP_2)
	v_pack_b32_f16 v1, v4, v2
	v_add_f16_e32 v2, v3, v31
	v_add_f16_e32 v3, v30, v32
	v_sub_f16_e32 v4, v27, v28
	v_pack_b32_f16 v2, v2, v3
	v_pack_b32_f16 v3, v33, v29
	ds_store_2addr_b32 v148, v2, v3 offset1:81
	ds_store_b32 v148, v1 offset:648
	v_lshrrev_b32_e32 v1, 16, v5
	v_add_f16_e32 v3, v27, v28
	s_delay_alu instid0(VALU_DEP_2) | instskip(NEXT) | instid1(VALU_DEP_2)
	v_add_f16_e32 v2, v1, v27
	v_fmac_f16_e32 v1, -0.5, v3
	v_add_f16_e32 v3, v5, v26
	v_add_f16_e32 v27, v26, v25
	s_delay_alu instid0(VALU_DEP_4) | instskip(NEXT) | instid1(VALU_DEP_3)
	v_add_f16_e32 v2, v2, v28
	v_add_f16_e32 v3, v3, v25
	v_sub_f16_e32 v25, v26, v25
	s_delay_alu instid0(VALU_DEP_2) | instskip(SKIP_1) | instid1(VALU_DEP_3)
	v_pack_b32_f16 v2, v3, v2
	v_fma_f16 v3, -0.5, v27, v5
	v_fmamk_f16 v26, v25, 0x3aee, v1
	v_fmac_f16_e32 v1, 0xbaee, v25
	s_delay_alu instid0(VALU_DEP_3) | instskip(SKIP_1) | instid1(VALU_DEP_2)
	v_fmamk_f16 v5, v4, 0xbaee, v3
	v_fmac_f16_e32 v3, 0x3aee, v4
	v_pack_b32_f16 v5, v5, v26
	s_delay_alu instid0(VALU_DEP_2)
	v_pack_b32_f16 v1, v3, v1
	v_add_f16_e32 v3, v6, v21
	ds_store_2addr_b32 v185, v2, v5 offset1:81
	ds_store_b32 v185, v1 offset:648
	v_add_f16_e32 v1, v21, v23
	v_lshrrev_b32_e32 v2, 16, v6
	s_delay_alu instid0(VALU_DEP_2) | instskip(SKIP_1) | instid1(VALU_DEP_3)
	v_fmac_f16_e32 v6, -0.5, v1
	v_sub_f16_e32 v1, v22, v24
	v_add_f16_e32 v5, v2, v22
	s_delay_alu instid0(VALU_DEP_2) | instskip(SKIP_2) | instid1(VALU_DEP_1)
	v_fmamk_f16 v4, v1, 0xbaee, v6
	v_fmac_f16_e32 v6, 0x3aee, v1
	v_add_f16_e32 v1, v22, v24
	v_fmac_f16_e32 v2, -0.5, v1
	v_sub_f16_e32 v1, v21, v23
	s_delay_alu instid0(VALU_DEP_1) | instskip(SKIP_1) | instid1(VALU_DEP_1)
	v_fmamk_f16 v21, v1, 0x3aee, v2
	v_fmac_f16_e32 v2, 0xbaee, v1
	v_pack_b32_f16 v1, v6, v2
	v_add_f16_e32 v2, v3, v23
	v_add_f16_e32 v3, v5, v24
	v_add_f16_e32 v5, v18, v17
	v_sub_f16_e32 v6, v18, v17
	s_delay_alu instid0(VALU_DEP_3)
	v_pack_b32_f16 v2, v2, v3
	v_pack_b32_f16 v3, v4, v21
	ds_store_2addr_b32 v189, v2, v3 offset1:81
	ds_store_b32 v189, v1 offset:648
	v_lshrrev_b32_e32 v1, 16, v7
	v_add_f16_e32 v3, v19, v20
	v_sub_f16_e32 v4, v19, v20
	s_delay_alu instid0(VALU_DEP_3) | instskip(NEXT) | instid1(VALU_DEP_3)
	v_add_f16_e32 v2, v1, v19
	v_fmac_f16_e32 v1, -0.5, v3
	v_add_f16_e32 v3, v7, v18
	s_delay_alu instid0(VALU_DEP_3) | instskip(NEXT) | instid1(VALU_DEP_2)
	v_add_f16_e32 v2, v2, v20
	v_add_f16_e32 v3, v3, v17
	s_delay_alu instid0(VALU_DEP_1) | instskip(SKIP_3) | instid1(VALU_DEP_3)
	v_pack_b32_f16 v2, v3, v2
	v_fma_f16 v3, -0.5, v5, v7
	v_fmamk_f16 v7, v6, 0x3aee, v1
	v_fmac_f16_e32 v1, 0xbaee, v6
	v_fmamk_f16 v5, v4, 0xbaee, v3
	v_fmac_f16_e32 v3, 0x3aee, v4
	s_delay_alu instid0(VALU_DEP_2) | instskip(NEXT) | instid1(VALU_DEP_2)
	v_pack_b32_f16 v5, v5, v7
	v_pack_b32_f16 v1, v3, v1
	v_add_f16_e32 v3, v8, v13
	ds_store_2addr_b32 v191, v2, v5 offset1:81
	ds_store_b32 v191, v1 offset:648
	v_add_f16_e32 v1, v13, v15
	v_lshrrev_b32_e32 v2, 16, v8
	s_delay_alu instid0(VALU_DEP_2) | instskip(SKIP_1) | instid1(VALU_DEP_3)
	v_fmac_f16_e32 v8, -0.5, v1
	v_sub_f16_e32 v1, v14, v16
	v_add_f16_e32 v5, v2, v14
	s_delay_alu instid0(VALU_DEP_2) | instskip(SKIP_2) | instid1(VALU_DEP_1)
	v_fmamk_f16 v4, v1, 0xbaee, v8
	v_fmac_f16_e32 v8, 0x3aee, v1
	v_add_f16_e32 v1, v14, v16
	v_fmac_f16_e32 v2, -0.5, v1
	v_sub_f16_e32 v1, v13, v15
	s_delay_alu instid0(VALU_DEP_1) | instskip(SKIP_1) | instid1(VALU_DEP_1)
	v_fmamk_f16 v6, v1, 0x3aee, v2
	v_fmac_f16_e32 v2, 0xbaee, v1
	v_pack_b32_f16 v1, v8, v2
	v_add_f16_e32 v2, v3, v15
	v_add_f16_e32 v3, v5, v16
	s_delay_alu instid0(VALU_DEP_1)
	v_pack_b32_f16 v2, v2, v3
	v_pack_b32_f16 v3, v4, v6
	ds_store_2addr_b32 v196, v2, v3 offset1:81
	ds_store_b32 v196, v1 offset:648
	v_add_f16_e32 v1, v9, v11
	v_lshrrev_b32_e32 v2, 16, v0
	v_add_f16_e32 v3, v0, v9
	s_delay_alu instid0(VALU_DEP_3) | instskip(SKIP_1) | instid1(VALU_DEP_4)
	v_fmac_f16_e32 v0, -0.5, v1
	v_sub_f16_e32 v1, v10, v12
	v_add_f16_e32 v5, v2, v10
	s_delay_alu instid0(VALU_DEP_2) | instskip(SKIP_2) | instid1(VALU_DEP_1)
	v_fmamk_f16 v4, v1, 0xbaee, v0
	v_fmac_f16_e32 v0, 0x3aee, v1
	v_add_f16_e32 v1, v10, v12
	v_fmac_f16_e32 v2, -0.5, v1
	v_sub_f16_e32 v1, v9, v11
	s_delay_alu instid0(VALU_DEP_1) | instskip(SKIP_2) | instid1(VALU_DEP_2)
	v_fmamk_f16 v6, v1, 0x3aee, v2
	v_fmac_f16_e32 v2, 0xbaee, v1
	v_add_f16_e32 v1, v3, v11
	v_pack_b32_f16 v0, v0, v2
	v_add_f16_e32 v2, v5, v12
	s_delay_alu instid0(VALU_DEP_1)
	v_pack_b32_f16 v1, v1, v2
	v_pack_b32_f16 v2, v4, v6
	ds_store_2addr_b32 v197, v1, v2 offset1:81
	ds_store_b32 v197, v0 offset:648
	s_waitcnt lgkmcnt(0)
	s_barrier
	buffer_gl0_inv
	ds_load_2addr_b32 v[0:1], v187 offset0:6 offset1:249
	ds_load_2addr_b32 v[2:3], v171 offset1:243
	s_waitcnt lgkmcnt(1)
	v_lshrrev_b32_e32 v6, 16, v1
	s_waitcnt lgkmcnt(0)
	v_lshrrev_b32_e32 v8, 16, v3
	v_mul_f16_e64 v9, v244, v3
	v_mul_f16_e64 v7, v157, v1
	v_lshrrev_b32_e32 v4, 16, v0
	v_mul_f16_e64 v11, v157, v6
	s_delay_alu instid0(VALU_DEP_4) | instskip(NEXT) | instid1(VALU_DEP_4)
	v_fma_f16 v12, v96, v8, -v9
	v_fma_f16 v42, v77, v6, -v7
	s_delay_alu instid0(VALU_DEP_4) | instskip(NEXT) | instid1(VALU_DEP_4)
	v_mul_f16_e64 v5, v157, v4
	v_fmac_f16_e32 v11, v77, v1
	v_mul_f16_e64 v1, v244, v8
	ds_load_b32 v8, v122 offset:25272
	v_fmac_f16_e32 v5, v77, v0
	v_mul_f16_e64 v0, v157, v0
	v_fmac_f16_e32 v1, v96, v3
	v_lshrrev_b32_e32 v3, 16, v2
	s_delay_alu instid0(VALU_DEP_3) | instskip(NEXT) | instid1(VALU_DEP_2)
	v_fma_f16 v0, v77, v4, -v0
	v_mul_f16_e64 v15, v242, v3
	s_delay_alu instid0(VALU_DEP_1) | instskip(SKIP_3) | instid1(VALU_DEP_2)
	v_fmac_f16_e32 v15, v94, v2
	s_waitcnt lgkmcnt(0)
	v_lshrrev_b32_e32 v9, 16, v8
	v_mul_f16_e64 v10, v243, v8
	v_mul_f16_e64 v13, v243, v9
	s_delay_alu instid0(VALU_DEP_2) | instskip(NEXT) | instid1(VALU_DEP_2)
	v_fma_f16 v14, v97, v9, -v10
	v_fmac_f16_e32 v13, v97, v8
	v_mul_f16_e64 v8, v242, v2
	s_delay_alu instid0(VALU_DEP_1) | instskip(SKIP_4) | instid1(VALU_DEP_2)
	v_fma_f16 v16, v94, v3, -v8
	ds_load_2addr_b32 v[2:3], v146 offset0:8 offset1:251
	s_waitcnt lgkmcnt(0)
	v_lshrrev_b32_e32 v8, 16, v3
	v_mul_f16_e64 v9, v241, v3
	v_mul_f16_e64 v17, v241, v8
	s_delay_alu instid0(VALU_DEP_2) | instskip(SKIP_2) | instid1(VALU_DEP_4)
	v_fma_f16 v18, v95, v8, -v9
	v_lshrrev_b32_e32 v8, 16, v2
	v_mul_f16_e64 v9, v238, v2
	v_fmac_f16_e32 v17, v95, v3
	s_delay_alu instid0(VALU_DEP_3) | instskip(NEXT) | instid1(VALU_DEP_3)
	v_mul_f16_e64 v19, v238, v8
	v_fma_f16 v22, v91, v8, -v9
	s_delay_alu instid0(VALU_DEP_2)
	v_fmac_f16_e32 v19, v91, v2
	ds_load_2addr_b32 v[2:3], v149 offset0:10 offset1:253
	s_waitcnt lgkmcnt(0)
	v_lshrrev_b32_e32 v10, 16, v3
	v_mul_f16_e64 v20, v237, v3
	v_mul_f16_e64 v8, v234, v2
	s_delay_alu instid0(VALU_DEP_3) | instskip(NEXT) | instid1(VALU_DEP_3)
	v_mul_f16_e64 v21, v237, v10
	v_fma_f16 v20, v90, v10, -v20
	s_delay_alu instid0(VALU_DEP_2) | instskip(SKIP_1) | instid1(VALU_DEP_1)
	v_fmac_f16_e32 v21, v90, v3
	v_lshrrev_b32_e32 v3, 16, v2
	v_mul_f16_e64 v23, v234, v3
	v_fma_f16 v24, v88, v3, -v8
	s_delay_alu instid0(VALU_DEP_2) | instskip(SKIP_4) | instid1(VALU_DEP_2)
	v_fmac_f16_e32 v23, v88, v2
	ds_load_2addr_b32 v[2:3], v161 offset0:2 offset1:245
	s_waitcnt lgkmcnt(0)
	v_lshrrev_b32_e32 v8, 16, v3
	v_mul_f16_e64 v9, v233, v3
	v_mul_f16_e64 v25, v233, v8
	s_delay_alu instid0(VALU_DEP_2) | instskip(SKIP_2) | instid1(VALU_DEP_4)
	v_fma_f16 v26, v89, v8, -v9
	v_lshrrev_b32_e32 v8, 16, v2
	v_mul_f16_e64 v9, v229, v2
	v_fmac_f16_e32 v25, v89, v3
	s_delay_alu instid0(VALU_DEP_3) | instskip(NEXT) | instid1(VALU_DEP_3)
	v_mul_f16_e64 v27, v229, v8
	v_fma_f16 v30, v83, v8, -v9
	s_delay_alu instid0(VALU_DEP_2)
	v_fmac_f16_e32 v27, v83, v2
	ds_load_2addr_b32 v[2:3], v163 offset0:4 offset1:247
	s_waitcnt lgkmcnt(0)
	v_lshrrev_b32_e32 v10, 16, v3
	v_mul_f16_e64 v28, v228, v3
	v_mul_f16_e64 v8, v224, v2
	s_delay_alu instid0(VALU_DEP_3) | instskip(NEXT) | instid1(VALU_DEP_3)
	v_mul_f16_e64 v29, v228, v10
	v_fma_f16 v28, v82, v10, -v28
	s_delay_alu instid0(VALU_DEP_2) | instskip(SKIP_1) | instid1(VALU_DEP_1)
	v_fmac_f16_e32 v29, v82, v3
	v_lshrrev_b32_e32 v3, 16, v2
	v_mul_f16_e64 v31, v224, v3
	v_fma_f16 v32, v80, v3, -v8
	s_delay_alu instid0(VALU_DEP_2) | instskip(SKIP_4) | instid1(VALU_DEP_2)
	v_fmac_f16_e32 v31, v80, v2
	ds_load_2addr_b32 v[2:3], v181 offset0:12 offset1:255
	s_waitcnt lgkmcnt(0)
	v_lshrrev_b32_e32 v8, 16, v3
	v_mul_f16_e64 v9, v223, v3
	v_mul_f16_e64 v33, v223, v8
	s_delay_alu instid0(VALU_DEP_2) | instskip(SKIP_2) | instid1(VALU_DEP_4)
	v_fma_f16 v34, v81, v8, -v9
	v_lshrrev_b32_e32 v8, 16, v2
	v_mul_f16_e64 v9, v155, v2
	v_fmac_f16_e32 v33, v81, v3
	s_delay_alu instid0(VALU_DEP_3) | instskip(NEXT) | instid1(VALU_DEP_3)
	v_mul_f16_e64 v35, v155, v8
	v_fma_f16 v38, v79, v8, -v9
	s_delay_alu instid0(VALU_DEP_2)
	v_fmac_f16_e32 v35, v79, v2
	ds_load_2addr_b32 v[2:3], v179 offset0:6 offset1:249
	s_waitcnt lgkmcnt(0)
	v_lshrrev_b32_e32 v10, 16, v3
	v_lshrrev_b32_e32 v8, 16, v2
	v_mul_f16_e64 v36, v222, v3
	v_mul_f16_e64 v9, v214, v2
	s_delay_alu instid0(VALU_DEP_4) | instskip(NEXT) | instid1(VALU_DEP_4)
	v_mul_f16_e64 v37, v222, v10
	v_mul_f16_e64 v39, v214, v8
	s_delay_alu instid0(VALU_DEP_4) | instskip(NEXT) | instid1(VALU_DEP_3)
	v_fma_f16 v36, v78, v10, -v36
	v_fmac_f16_e32 v37, v78, v3
	s_delay_alu instid0(VALU_DEP_3) | instskip(SKIP_4) | instid1(VALU_DEP_2)
	v_fmac_f16_e32 v39, v76, v2
	ds_load_2addr_b32 v[2:3], v188 offset0:8 offset1:251
	s_waitcnt lgkmcnt(0)
	v_lshrrev_b32_e32 v10, 16, v3
	v_mul_f16_e64 v40, v214, v3
	v_mul_f16_e64 v41, v214, v10
	s_delay_alu instid0(VALU_DEP_2) | instskip(SKIP_1) | instid1(VALU_DEP_3)
	v_fma_f16 v10, v76, v10, -v40
	v_fma_f16 v40, v76, v8, -v9
	v_fmac_f16_e32 v41, v76, v3
	ds_load_2addr_b32 v[3:4], v122 offset1:243
	v_add_f16_e32 v7, v10, v0
	v_sub_f16_e32 v44, v10, v0
	s_waitcnt lgkmcnt(0)
	v_lshrrev_b32_e32 v43, 16, v3
	s_delay_alu instid0(VALU_DEP_1) | instskip(SKIP_2) | instid1(VALU_DEP_3)
	v_add_f16_e32 v6, v43, v10
	v_fmac_f16_e32 v43, -0.5, v7
	v_add_f16_e32 v7, v41, v5
	v_add_f16_e32 v0, v6, v0
	;; [unrolled: 1-line block ×3, first 2 shown]
	v_sub_f16_e32 v41, v41, v5
	s_delay_alu instid0(VALU_DEP_4) | instskip(NEXT) | instid1(VALU_DEP_3)
	v_fma_f16 v3, -0.5, v7, v3
	v_add_f16_e32 v6, v6, v5
	s_delay_alu instid0(VALU_DEP_2) | instskip(SKIP_1) | instid1(VALU_DEP_3)
	v_fmamk_f16 v5, v44, 0xbaee, v3
	v_fmac_f16_e32 v3, 0x3aee, v44
	v_pack_b32_f16 v0, v6, v0
	v_fmamk_f16 v6, v41, 0x3aee, v43
	v_fmac_f16_e32 v43, 0xbaee, v41
	v_lshrrev_b32_e32 v41, 16, v4
	s_delay_alu instid0(VALU_DEP_3)
	v_pack_b32_f16 v45, v5, v6
	ds_load_2addr_b32 v[5:6], v176 offset0:6 offset1:249
	ds_load_2addr_b32 v[7:8], v159 offset0:12 offset1:255
	ds_load_2addr_b32 v[9:10], v144 offset0:2 offset1:245
	s_waitcnt lgkmcnt(0)
	s_barrier
	buffer_gl0_inv
	ds_store_2addr_b32 v122, v0, v45 offset1:243
	v_pack_b32_f16 v0, v3, v43
	v_add_f16_e32 v3, v4, v39
	v_add_f16_e32 v43, v41, v40
	s_delay_alu instid0(VALU_DEP_2) | instskip(NEXT) | instid1(VALU_DEP_2)
	v_add_f16_e32 v3, v3, v11
	v_add_f16_e32 v43, v43, v42
	s_delay_alu instid0(VALU_DEP_1) | instskip(SKIP_3) | instid1(VALU_DEP_2)
	v_pack_b32_f16 v3, v3, v43
	ds_store_2addr_b32 v176, v0, v3 offset0:6 offset1:249
	v_add_f16_e32 v0, v39, v11
	v_sub_f16_e32 v3, v40, v42
	v_fmac_f16_e32 v4, -0.5, v0
	v_add_f16_e32 v0, v40, v42
	s_delay_alu instid0(VALU_DEP_1) | instskip(SKIP_1) | instid1(VALU_DEP_4)
	v_fmac_f16_e32 v41, -0.5, v0
	v_sub_f16_e32 v0, v39, v11
	v_fmamk_f16 v11, v3, 0xbaee, v4
	v_fmac_f16_e32 v4, 0x3aee, v3
	s_delay_alu instid0(VALU_DEP_3) | instskip(SKIP_1) | instid1(VALU_DEP_2)
	v_fmamk_f16 v3, v0, 0x3aee, v41
	v_fmac_f16_e32 v41, 0xbaee, v0
	v_pack_b32_f16 v3, v11, v3
	s_delay_alu instid0(VALU_DEP_2) | instskip(SKIP_4) | instid1(VALU_DEP_1)
	v_pack_b32_f16 v0, v4, v41
	v_add_f16_e32 v4, v36, v38
	v_sub_f16_e32 v11, v36, v38
	ds_store_2addr_b32 v159, v3, v0 offset0:12 offset1:255
	v_lshrrev_b32_e32 v0, 16, v5
	v_add_f16_e32 v3, v0, v36
	v_fmac_f16_e32 v0, -0.5, v4
	v_add_f16_e32 v4, v5, v37
	v_add_f16_e32 v36, v37, v35
	s_delay_alu instid0(VALU_DEP_4) | instskip(NEXT) | instid1(VALU_DEP_3)
	v_add_f16_e32 v3, v3, v38
	v_add_f16_e32 v4, v4, v35
	v_sub_f16_e32 v35, v37, v35
	s_delay_alu instid0(VALU_DEP_2) | instskip(SKIP_1) | instid1(VALU_DEP_3)
	v_pack_b32_f16 v3, v4, v3
	v_fma_f16 v4, -0.5, v36, v5
	v_fmamk_f16 v36, v35, 0x3aee, v0
	v_fmac_f16_e32 v0, 0xbaee, v35
	s_delay_alu instid0(VALU_DEP_3) | instskip(SKIP_1) | instid1(VALU_DEP_2)
	v_fmamk_f16 v5, v11, 0xbaee, v4
	v_fmac_f16_e32 v4, 0x3aee, v11
	v_pack_b32_f16 v5, v5, v36
	scratch_load_b32 v36, off, off offset:376 ; 4-byte Folded Reload
	v_pack_b32_f16 v0, v4, v0
	s_waitcnt vmcnt(0)
	ds_store_2addr_b32 v36, v3, v5 offset0:2 offset1:245
	v_add_f16_e32 v3, v31, v33
	v_lshrrev_b32_e32 v5, 16, v6
	v_add_f16_e32 v36, v6, v31
	v_sub_f16_e32 v31, v31, v33
	s_delay_alu instid0(VALU_DEP_4) | instskip(SKIP_2) | instid1(VALU_DEP_2)
	v_fmac_f16_e32 v6, -0.5, v3
	v_add_f16_e32 v3, v32, v34
	v_add_f16_e32 v37, v5, v32
	v_fmac_f16_e32 v5, -0.5, v3
	v_sub_f16_e32 v3, v32, v34
	s_delay_alu instid0(VALU_DEP_3) | instskip(SKIP_2) | instid1(VALU_DEP_4)
	v_add_f16_e32 v32, v37, v34
	v_add_f16_e32 v34, v36, v33
	;; [unrolled: 1-line block ×3, first 2 shown]
	v_fmamk_f16 v33, v3, 0xbaee, v6
	v_fmac_f16_e32 v6, 0x3aee, v3
	s_delay_alu instid0(VALU_DEP_4) | instskip(SKIP_2) | instid1(VALU_DEP_2)
	v_pack_b32_f16 v32, v34, v32
	v_fmamk_f16 v34, v31, 0x3aee, v5
	v_fmac_f16_e32 v5, 0xbaee, v31
	v_pack_b32_f16 v33, v33, v34
	scratch_load_b32 v34, off, off offset:356 ; 4-byte Folded Reload
	v_pack_b32_f16 v3, v6, v5
	s_waitcnt vmcnt(0)
	ds_store_2addr_b32 v34, v32, v33 offset0:11 offset1:254
	v_lshrrev_b32_e32 v32, 16, v7
	v_add_f16_e32 v33, v28, v30
	s_delay_alu instid0(VALU_DEP_2) | instskip(NEXT) | instid1(VALU_DEP_2)
	v_add_f16_e32 v34, v32, v28
	v_fmac_f16_e32 v32, -0.5, v33
	v_add_f16_e32 v33, v7, v29
	v_sub_f16_e32 v28, v28, v30
	v_fma_f16 v7, -0.5, v36, v7
	s_delay_alu instid0(VALU_DEP_3) | instskip(SKIP_2) | instid1(VALU_DEP_4)
	v_add_f16_e32 v33, v33, v27
	v_sub_f16_e32 v27, v29, v27
	v_add_f16_e32 v29, v34, v30
	v_fmamk_f16 v30, v28, 0xbaee, v7
	v_fmac_f16_e32 v7, 0x3aee, v28
	s_delay_alu instid0(VALU_DEP_3) | instskip(SKIP_2) | instid1(VALU_DEP_2)
	v_pack_b32_f16 v29, v33, v29
	v_fmamk_f16 v33, v27, 0x3aee, v32
	v_fmac_f16_e32 v32, 0xbaee, v27
	v_pack_b32_f16 v30, v30, v33
	scratch_load_b32 v33, off, off offset:360 ; 4-byte Folded Reload
	s_waitcnt vmcnt(0)
	ds_store_2addr_b32 v33, v29, v30 offset0:4 offset1:247
	v_add_f16_e32 v29, v23, v25
	v_lshrrev_b32_e32 v30, 16, v8
	v_add_f16_e32 v33, v8, v23
	v_sub_f16_e32 v23, v23, v25
	s_delay_alu instid0(VALU_DEP_4) | instskip(SKIP_3) | instid1(VALU_DEP_3)
	v_fmac_f16_e32 v8, -0.5, v29
	v_add_f16_e32 v29, v24, v26
	v_add_f16_e32 v34, v30, v24
	v_sub_f16_e32 v24, v24, v26
	v_fmac_f16_e32 v30, -0.5, v29
	s_delay_alu instid0(VALU_DEP_3) | instskip(SKIP_2) | instid1(VALU_DEP_2)
	v_add_f16_e32 v26, v34, v26
	v_add_f16_e32 v29, v33, v25
	;; [unrolled: 1-line block ×3, first 2 shown]
	v_pack_b32_f16 v25, v29, v26
	v_fmamk_f16 v26, v24, 0xbaee, v8
	v_fmamk_f16 v29, v23, 0x3aee, v30
	v_fmac_f16_e32 v8, 0x3aee, v24
	v_fmac_f16_e32 v30, 0xbaee, v23
	s_delay_alu instid0(VALU_DEP_3)
	v_pack_b32_f16 v26, v26, v29
	scratch_load_b32 v29, off, off offset:364 ; 4-byte Folded Reload
	v_pack_b32_f16 v5, v8, v30
	s_waitcnt vmcnt(0)
	ds_store_2addr_b32 v29, v25, v26 offset0:5 offset1:248
	v_lshrrev_b32_e32 v25, 16, v9
	v_add_f16_e32 v26, v20, v22
	s_delay_alu instid0(VALU_DEP_2) | instskip(NEXT) | instid1(VALU_DEP_2)
	v_add_f16_e32 v29, v25, v20
	v_fmac_f16_e32 v25, -0.5, v26
	v_add_f16_e32 v26, v9, v21
	v_sub_f16_e32 v20, v20, v22
	v_fma_f16 v9, -0.5, v33, v9
	s_delay_alu instid0(VALU_DEP_3) | instskip(SKIP_2) | instid1(VALU_DEP_4)
	v_add_f16_e32 v26, v26, v19
	v_sub_f16_e32 v19, v21, v19
	v_add_f16_e32 v21, v29, v22
	v_fmamk_f16 v22, v20, 0xbaee, v9
	v_fmac_f16_e32 v9, 0x3aee, v20
	s_delay_alu instid0(VALU_DEP_3) | instskip(SKIP_2) | instid1(VALU_DEP_2)
	v_pack_b32_f16 v21, v26, v21
	v_fmamk_f16 v26, v19, 0x3aee, v25
	v_fmac_f16_e32 v25, 0xbaee, v19
	v_pack_b32_f16 v22, v22, v26
	scratch_load_b32 v26, off, off offset:368 ; 4-byte Folded Reload
	s_waitcnt vmcnt(0)
	ds_store_2addr_b32 v26, v21, v22 offset0:6 offset1:249
	v_add_f16_e32 v21, v15, v17
	v_lshrrev_b32_e32 v22, 16, v10
	v_add_f16_e32 v26, v10, v15
	v_sub_f16_e32 v15, v15, v17
	s_delay_alu instid0(VALU_DEP_4) | instskip(SKIP_3) | instid1(VALU_DEP_3)
	v_fmac_f16_e32 v10, -0.5, v21
	v_add_f16_e32 v21, v16, v18
	v_add_f16_e32 v29, v22, v16
	v_sub_f16_e32 v16, v16, v18
	v_fmac_f16_e32 v22, -0.5, v21
	s_delay_alu instid0(VALU_DEP_3) | instskip(SKIP_1) | instid1(VALU_DEP_1)
	v_add_f16_e32 v18, v29, v18
	v_add_f16_e32 v21, v26, v17
	v_pack_b32_f16 v17, v21, v18
	v_fmamk_f16 v18, v16, 0xbaee, v10
	v_fmamk_f16 v21, v15, 0x3aee, v22
	v_fmac_f16_e32 v10, 0x3aee, v16
	v_fmac_f16_e32 v22, 0xbaee, v15
	s_delay_alu instid0(VALU_DEP_3)
	v_pack_b32_f16 v18, v18, v21
	scratch_load_b32 v21, off, off offset:372 ; 4-byte Folded Reload
	v_pack_b32_f16 v6, v10, v22
	s_waitcnt vmcnt(0)
	ds_store_2addr_b32 v21, v17, v18 offset0:7 offset1:250
	v_add_f16_e32 v17, v1, v13
	v_lshrrev_b32_e32 v18, 16, v2
	v_add_f16_e32 v21, v2, v1
	v_sub_f16_e32 v1, v1, v13
	s_delay_alu instid0(VALU_DEP_4) | instskip(SKIP_3) | instid1(VALU_DEP_3)
	v_fmac_f16_e32 v2, -0.5, v17
	v_add_f16_e32 v17, v12, v14
	v_add_f16_e32 v26, v18, v12
	v_sub_f16_e32 v12, v12, v14
	v_fmac_f16_e32 v18, -0.5, v17
	s_delay_alu instid0(VALU_DEP_3) | instskip(SKIP_1) | instid1(VALU_DEP_1)
	v_add_f16_e32 v14, v26, v14
	v_add_f16_e32 v17, v21, v13
	v_pack_b32_f16 v13, v17, v14
	v_fmamk_f16 v14, v12, 0xbaee, v2
	v_fmamk_f16 v17, v1, 0x3aee, v18
	v_fmac_f16_e32 v2, 0x3aee, v12
	v_fmac_f16_e32 v18, 0xbaee, v1
	s_delay_alu instid0(VALU_DEP_3)
	v_pack_b32_f16 v14, v14, v17
	scratch_load_b32 v17, off, off offset:380 ; 4-byte Folded Reload
	v_pack_b32_f16 v1, v2, v18
	scratch_load_b32 v2, off, off offset:408 ; 4-byte Folded Reload
	s_waitcnt vmcnt(1)
	ds_store_2addr_b32 v17, v13, v14 offset0:8 offset1:251
	s_waitcnt vmcnt(0)
	ds_store_b32 v2, v0 offset:7776
	scratch_load_b32 v2, off, off offset:400 ; 4-byte Folded Reload
	v_pack_b32_f16 v0, v7, v32
	s_waitcnt vmcnt(0)
	ds_store_b32 v2, v3 offset:10692
	scratch_load_b32 v2, off, off offset:404 ; 4-byte Folded Reload
	s_waitcnt vmcnt(0)
	ds_store_b32 v2, v0 offset:13608
	scratch_load_b32 v2, off, off offset:384 ; 4-byte Folded Reload
	v_pack_b32_f16 v0, v9, v25
	s_waitcnt vmcnt(0)
	ds_store_b32 v2, v5 offset:16524
	scratch_load_b32 v2, off, off offset:388 ; 4-byte Folded Reload
	s_waitcnt vmcnt(0)
	ds_store_b32 v2, v0 offset:19440
	scratch_load_b32 v0, off, off offset:392 ; 4-byte Folded Reload
	;; [unrolled: 3-line block ×3, first 2 shown]
	s_waitcnt vmcnt(0)
	ds_store_b32 v0, v1 offset:25272
	s_waitcnt lgkmcnt(0)
	s_barrier
	buffer_gl0_inv
	ds_load_2addr_b32 v[5:6], v171 offset1:243
	ds_load_2addr_b32 v[8:9], v146 offset0:8 offset1:251
	s_waitcnt lgkmcnt(1)
	v_lshrrev_b32_e32 v0, 16, v6
	v_mul_f16_e64 v1, v164, v6
	s_waitcnt lgkmcnt(0)
	v_mul_f16_e64 v10, v249, v9
	v_mul_f16_e64 v11, v247, v8
	;; [unrolled: 1-line block ×3, first 2 shown]
	v_fma_f16 v4, v110, v0, -v1
	ds_load_b32 v0, v122 offset:25272
	v_fmac_f16_e32 v2, v110, v6
	v_mul_f16_e64 v6, v248, v5
	s_waitcnt lgkmcnt(0)
	v_lshrrev_b32_e32 v3, 16, v0
	v_mul_f16_e64 v7, v245, v0
	s_delay_alu instid0(VALU_DEP_2) | instskip(NEXT) | instid1(VALU_DEP_2)
	v_mul_f16_e64 v1, v245, v3
	v_fma_f16 v3, v111, v3, -v7
	s_delay_alu instid0(VALU_DEP_2) | instskip(SKIP_1) | instid1(VALU_DEP_1)
	v_fmac_f16_e32 v1, v111, v0
	v_lshrrev_b32_e32 v0, 16, v5
	v_mul_f16_e64 v7, v248, v0
	v_fma_f16 v0, v108, v0, -v6
	v_lshrrev_b32_e32 v6, 16, v9
	s_delay_alu instid0(VALU_DEP_3) | instskip(NEXT) | instid1(VALU_DEP_2)
	v_fmac_f16_e32 v7, v108, v5
	v_mul_f16_e64 v5, v249, v6
	v_fma_f16 v6, v109, v6, -v10
	v_lshrrev_b32_e32 v10, 16, v8
	s_delay_alu instid0(VALU_DEP_3) | instskip(NEXT) | instid1(VALU_DEP_2)
	v_fmac_f16_e32 v5, v109, v9
	v_mul_f16_e64 v15, v247, v10
	v_fma_f16 v18, v107, v10, -v11
	s_delay_alu instid0(VALU_DEP_2)
	v_fmac_f16_e32 v15, v107, v8
	ds_load_2addr_b32 v[8:9], v149 offset0:10 offset1:253
	s_waitcnt lgkmcnt(0)
	v_lshrrev_b32_e32 v12, 16, v9
	v_lshrrev_b32_e32 v10, 16, v8
	v_mul_f16_e64 v13, v246, v9
	v_mul_f16_e64 v11, v232, v8
	s_delay_alu instid0(VALU_DEP_4) | instskip(NEXT) | instid1(VALU_DEP_4)
	v_mul_f16_e64 v16, v246, v12
	v_mul_f16_e64 v19, v232, v10
	s_delay_alu instid0(VALU_DEP_4) | instskip(NEXT) | instid1(VALU_DEP_4)
	v_fma_f16 v17, v106, v12, -v13
	v_fma_f16 v22, v92, v10, -v11
	ds_load_2addr_b32 v[10:11], v181 offset0:12 offset1:255
	v_fmac_f16_e32 v16, v106, v9
	v_fmac_f16_e32 v19, v92, v8
	ds_load_2addr_b32 v[8:9], v179 offset0:6 offset1:249
	s_waitcnt lgkmcnt(0)
	v_lshrrev_b32_e32 v12, 16, v9
	v_mul_f16_e64 v13, v232, v9
	s_delay_alu instid0(VALU_DEP_2) | instskip(NEXT) | instid1(VALU_DEP_2)
	v_mul_f16_e64 v20, v232, v12
	v_fma_f16 v21, v92, v12, -v13
	v_lshrrev_b32_e32 v12, 16, v10
	v_mul_f16_e64 v13, v231, v10
	s_delay_alu instid0(VALU_DEP_4) | instskip(NEXT) | instid1(VALU_DEP_3)
	v_fmac_f16_e32 v20, v92, v9
	v_mul_f16_e64 v24, v231, v12
	s_delay_alu instid0(VALU_DEP_3)
	v_fma_f16 v23, v93, v12, -v13
	ds_load_2addr_b32 v[12:13], v161 offset0:2 offset1:245
	v_fmac_f16_e32 v24, v93, v10
	ds_load_2addr_b32 v[9:10], v187 offset0:6 offset1:249
	s_waitcnt lgkmcnt(1)
	v_lshrrev_b32_e32 v14, 16, v13
	v_mul_f16_e64 v25, v231, v13
	v_lshrrev_b32_e32 v31, 16, v12
	v_mul_f16_e64 v33, v153, v12
	s_waitcnt lgkmcnt(0)
	v_mul_f16_e64 v29, v154, v9
	v_mul_f16_e64 v26, v231, v14
	v_fma_f16 v25, v93, v14, -v25
	v_lshrrev_b32_e32 v14, 16, v9
	v_mul_f16_e64 v32, v153, v31
	v_fma_f16 v31, v87, v31, -v33
	v_fmac_f16_e32 v26, v93, v13
	v_lshrrev_b32_e32 v13, 16, v11
	v_mul_f16_e64 v28, v154, v14
	v_fmac_f16_e32 v32, v87, v12
	v_lshrrev_b32_e32 v12, 16, v8
	v_fma_f16 v14, v85, v14, -v29
	v_mul_f16_e64 v27, v154, v13
	v_fmac_f16_e32 v28, v85, v9
	v_lshrrev_b32_e32 v9, 16, v10
	v_mul_f16_e64 v34, v156, v12
	s_delay_alu instid0(VALU_DEP_4) | instskip(SKIP_1) | instid1(VALU_DEP_4)
	v_fmac_f16_e32 v27, v85, v11
	v_mul_f16_e64 v11, v154, v11
	v_mul_f16_e64 v30, v153, v9
	s_delay_alu instid0(VALU_DEP_4) | instskip(SKIP_1) | instid1(VALU_DEP_3)
	v_fmac_f16_e32 v34, v86, v8
	v_mul_f16_e64 v8, v156, v8
	v_fmac_f16_e32 v30, v87, v10
	v_mul_f16_e64 v10, v153, v10
	s_delay_alu instid0(VALU_DEP_3) | instskip(NEXT) | instid1(VALU_DEP_2)
	v_fma_f16 v12, v86, v12, -v8
	v_fma_f16 v35, v87, v9, -v10
	ds_load_2addr_b32 v[8:9], v163 offset0:4 offset1:247
	s_waitcnt lgkmcnt(0)
	v_lshrrev_b32_e32 v10, 16, v9
	v_mul_f16_e64 v36, v156, v9
	v_mul_f16_e64 v38, v219, v8
	s_delay_alu instid0(VALU_DEP_3) | instskip(NEXT) | instid1(VALU_DEP_3)
	v_mul_f16_e64 v37, v156, v10
	v_fma_f16 v36, v86, v10, -v36
	v_lshrrev_b32_e32 v10, 16, v8
	s_delay_alu instid0(VALU_DEP_3) | instskip(NEXT) | instid1(VALU_DEP_2)
	v_fmac_f16_e32 v37, v86, v9
	v_mul_f16_e64 v33, v219, v10
	v_fma_f16 v29, v84, v10, -v38
	v_fma_f16 v38, v85, v13, -v11
	v_add_f16_e32 v11, v34, v30
	s_delay_alu instid0(VALU_DEP_4) | instskip(SKIP_4) | instid1(VALU_DEP_2)
	v_fmac_f16_e32 v33, v84, v8
	ds_load_2addr_b32 v[8:9], v188 offset0:8 offset1:251
	s_waitcnt lgkmcnt(0)
	v_lshrrev_b32_e32 v39, 16, v9
	v_mul_f16_e64 v40, v219, v9
	v_mul_f16_e64 v41, v219, v39
	s_delay_alu instid0(VALU_DEP_2) | instskip(NEXT) | instid1(VALU_DEP_2)
	v_fma_f16 v39, v84, v39, -v40
	v_fmac_f16_e32 v41, v84, v9
	ds_load_2addr_b32 v[9:10], v122 offset1:243
	s_waitcnt lgkmcnt(0)
	v_lshrrev_b32_e32 v13, 16, v10
	v_add_f16_e32 v40, v10, v34
	v_fmac_f16_e32 v10, -0.5, v11
	v_add_f16_e32 v11, v12, v35
	s_delay_alu instid0(VALU_DEP_4) | instskip(NEXT) | instid1(VALU_DEP_2)
	v_add_f16_e32 v42, v13, v12
	v_fmac_f16_e32 v13, -0.5, v11
	v_sub_f16_e32 v11, v12, v35
	v_add_f16_e32 v12, v39, v14
	s_delay_alu instid0(VALU_DEP_2) | instskip(SKIP_2) | instid1(VALU_DEP_1)
	v_fmamk_f16 v43, v11, 0xbaee, v10
	v_fmac_f16_e32 v10, 0x3aee, v11
	v_sub_f16_e32 v11, v34, v30
	v_fmamk_f16 v34, v11, 0x3aee, v13
	v_fmac_f16_e32 v13, 0xbaee, v11
	v_add_f16_e32 v11, v41, v28
	s_delay_alu instid0(VALU_DEP_2) | instskip(NEXT) | instid1(VALU_DEP_2)
	v_pack_b32_f16 v44, v10, v13
	v_fma_f16 v11, -0.5, v11, v9
	v_lshrrev_b32_e32 v10, 16, v9
	v_add_f16_e32 v9, v9, v41
	s_delay_alu instid0(VALU_DEP_2) | instskip(SKIP_1) | instid1(VALU_DEP_3)
	v_add_f16_e32 v13, v10, v39
	v_fmac_f16_e32 v10, -0.5, v12
	v_add_f16_e32 v9, v9, v28
	v_sub_f16_e32 v12, v41, v28
	v_sub_f16_e32 v28, v39, v14
	v_add_f16_e32 v13, v13, v14
	s_delay_alu instid0(VALU_DEP_3) | instskip(NEXT) | instid1(VALU_DEP_3)
	v_fmamk_f16 v14, v12, 0x3aee, v10
	v_fmamk_f16 v39, v28, 0xbaee, v11
	v_fmac_f16_e32 v11, 0x3aee, v28
	v_fmac_f16_e32 v10, 0xbaee, v12
	v_add_f16_e32 v12, v40, v30
	v_add_f16_e32 v28, v42, v35
	v_pack_b32_f16 v30, v39, v14
	v_pack_b32_f16 v35, v9, v13
	;; [unrolled: 1-line block ×3, first 2 shown]
	s_delay_alu instid0(VALU_DEP_4)
	v_pack_b32_f16 v28, v12, v28
	ds_load_2addr_b32 v[9:10], v176 offset0:6 offset1:249
	ds_load_2addr_b32 v[11:12], v159 offset0:12 offset1:255
	;; [unrolled: 1-line block ×3, first 2 shown]
	s_waitcnt lgkmcnt(0)
	s_barrier
	buffer_gl0_inv
	ds_store_b32 v122, v30 offset:2916
	ds_store_b32 v122, v39 offset:5832
	ds_store_2addr_b32 v122, v35, v28 offset1:243
	v_add_f16_e32 v30, v21, v23
	v_lshrrev_b32_e32 v28, 16, v9
	s_delay_alu instid0(VALU_DEP_1) | instskip(NEXT) | instid1(VALU_DEP_3)
	v_add_f16_e32 v35, v28, v21
	v_fmac_f16_e32 v28, -0.5, v30
	v_sub_f16_e32 v21, v21, v23
	v_add_f16_e32 v30, v9, v20
	s_delay_alu instid0(VALU_DEP_4) | instskip(SKIP_2) | instid1(VALU_DEP_4)
	v_add_f16_e32 v23, v35, v23
	v_add_f16_e32 v35, v20, v24
	v_sub_f16_e32 v20, v20, v24
	v_add_f16_e32 v30, v30, v24
	v_pack_b32_f16 v24, v43, v34
	s_delay_alu instid0(VALU_DEP_4) | instskip(NEXT) | instid1(VALU_DEP_4)
	v_fma_f16 v9, -0.5, v35, v9
	v_fmamk_f16 v34, v20, 0x3aee, v28
	s_delay_alu instid0(VALU_DEP_4) | instskip(SKIP_1) | instid1(VALU_DEP_4)
	v_pack_b32_f16 v23, v30, v23
	v_fmac_f16_e32 v28, 0xbaee, v20
	v_fmamk_f16 v30, v21, 0xbaee, v9
	v_fmac_f16_e32 v9, 0x3aee, v21
	s_delay_alu instid0(VALU_DEP_2)
	v_pack_b32_f16 v30, v30, v34
	ds_store_b32 v122, v44 offset:6804
	ds_store_b32 v122, v23 offset:1944
	ds_store_2addr_b32 v159, v24, v30 offset0:12 offset1:255
	v_add_f16_e32 v23, v33, v27
	v_lshrrev_b32_e32 v24, 16, v10
	v_add_f16_e32 v30, v10, v33
	v_pack_b32_f16 v9, v9, v28
	s_delay_alu instid0(VALU_DEP_4) | instskip(SKIP_3) | instid1(VALU_DEP_3)
	v_fmac_f16_e32 v10, -0.5, v23
	v_add_f16_e32 v23, v29, v38
	v_add_f16_e32 v34, v24, v29
	;; [unrolled: 1-line block ×3, first 2 shown]
	v_fmac_f16_e32 v24, -0.5, v23
	v_sub_f16_e32 v23, v29, v38
	s_delay_alu instid0(VALU_DEP_4) | instskip(NEXT) | instid1(VALU_DEP_2)
	v_add_f16_e32 v21, v34, v38
	v_fmamk_f16 v29, v23, 0xbaee, v10
	v_fmac_f16_e32 v10, 0x3aee, v23
	v_sub_f16_e32 v23, v33, v27
	s_delay_alu instid0(VALU_DEP_4) | instskip(SKIP_1) | instid1(VALU_DEP_3)
	v_pack_b32_f16 v20, v20, v21
	v_sub_f16_e32 v27, v37, v32
	v_fmamk_f16 v33, v23, 0x3aee, v24
	v_fmac_f16_e32 v24, 0xbaee, v23
	ds_store_2addr_b32 v188, v9, v20 offset0:8 offset1:251
	v_lshrrev_b32_e32 v9, 16, v11
	v_add_f16_e32 v20, v36, v31
	v_add_f16_e32 v23, v37, v32
	v_pack_b32_f16 v10, v10, v24
	v_sub_f16_e32 v24, v36, v31
	v_add_f16_e32 v21, v9, v36
	v_fmac_f16_e32 v9, -0.5, v20
	v_fma_f16 v23, -0.5, v23, v11
	v_pack_b32_f16 v20, v29, v33
	v_add_f16_e32 v11, v11, v37
	s_delay_alu instid0(VALU_DEP_4) | instskip(NEXT) | instid1(VALU_DEP_4)
	v_fmamk_f16 v29, v27, 0x3aee, v9
	v_fmamk_f16 v28, v24, 0xbaee, v23
	v_fmac_f16_e32 v23, 0x3aee, v24
	s_delay_alu instid0(VALU_DEP_4) | instskip(SKIP_1) | instid1(VALU_DEP_4)
	v_add_f16_e32 v11, v11, v32
	v_fmac_f16_e32 v9, 0xbaee, v27
	v_pack_b32_f16 v28, v28, v29
	s_delay_alu instid0(VALU_DEP_2) | instskip(SKIP_3) | instid1(VALU_DEP_2)
	v_pack_b32_f16 v9, v23, v9
	ds_store_2addr_b32 v163, v20, v28 offset0:4 offset1:247
	v_add_f16_e32 v20, v21, v31
	v_lshrrev_b32_e32 v21, 16, v12
	v_pack_b32_f16 v11, v11, v20
	v_add_f16_e32 v20, v12, v19
	s_delay_alu instid0(VALU_DEP_3) | instskip(NEXT) | instid1(VALU_DEP_2)
	v_add_f16_e32 v28, v21, v22
	v_add_f16_e32 v20, v20, v26
	s_delay_alu instid0(VALU_DEP_2) | instskip(NEXT) | instid1(VALU_DEP_1)
	v_add_f16_e32 v28, v28, v25
	v_pack_b32_f16 v20, v20, v28
	ds_store_2addr_b32 v179, v11, v20 offset0:6 offset1:249
	v_add_f16_e32 v11, v19, v26
	v_sub_f16_e32 v20, v22, v25
	s_delay_alu instid0(VALU_DEP_2) | instskip(SKIP_1) | instid1(VALU_DEP_1)
	v_fmac_f16_e32 v12, -0.5, v11
	v_add_f16_e32 v11, v22, v25
	v_fmac_f16_e32 v21, -0.5, v11
	v_sub_f16_e32 v11, v19, v26
	s_delay_alu instid0(VALU_DEP_4) | instskip(SKIP_1) | instid1(VALU_DEP_3)
	v_fmamk_f16 v19, v20, 0xbaee, v12
	v_fmac_f16_e32 v12, 0x3aee, v20
	v_fmamk_f16 v22, v11, 0x3aee, v21
	v_fmac_f16_e32 v21, 0xbaee, v11
	s_delay_alu instid0(VALU_DEP_2)
	v_pack_b32_f16 v19, v19, v22
	ds_store_2addr_b32 v149, v19, v10 offset0:10 offset1:253
	v_pack_b32_f16 v10, v12, v21
	v_add_f16_e32 v12, v16, v15
	ds_store_2addr_b32 v171, v9, v10 offset1:243
	v_lshrrev_b32_e32 v9, 16, v13
	v_add_f16_e32 v10, v17, v18
	v_fma_f16 v12, -0.5, v12, v13
	s_delay_alu instid0(VALU_DEP_3) | instskip(NEXT) | instid1(VALU_DEP_3)
	v_add_f16_e32 v11, v9, v17
	v_fmac_f16_e32 v9, -0.5, v10
	v_add_f16_e32 v10, v13, v16
	v_sub_f16_e32 v13, v17, v18
	s_delay_alu instid0(VALU_DEP_4) | instskip(NEXT) | instid1(VALU_DEP_3)
	v_add_f16_e32 v11, v11, v18
	v_add_f16_e32 v10, v10, v15
	v_sub_f16_e32 v15, v16, v15
	s_delay_alu instid0(VALU_DEP_4) | instskip(SKIP_1) | instid1(VALU_DEP_4)
	v_fmamk_f16 v16, v13, 0xbaee, v12
	v_fmac_f16_e32 v12, 0x3aee, v13
	v_pack_b32_f16 v10, v10, v11
	s_delay_alu instid0(VALU_DEP_4) | instskip(SKIP_1) | instid1(VALU_DEP_2)
	v_fmamk_f16 v13, v15, 0x3aee, v9
	v_fmac_f16_e32 v9, 0xbaee, v15
	v_pack_b32_f16 v11, v16, v13
	s_delay_alu instid0(VALU_DEP_2)
	v_pack_b32_f16 v9, v12, v9
	ds_store_b32 v215, v10 offset:17496
	ds_store_b32 v215, v11 offset:20412
	ds_store_b32 v215, v9 offset:23328
	v_add_f16_e32 v9, v7, v5
	v_lshrrev_b32_e32 v10, 16, v14
	v_add_f16_e32 v11, v14, v7
	v_lshrrev_b32_e32 v13, 16, v8
	s_delay_alu instid0(VALU_DEP_4) | instskip(SKIP_4) | instid1(VALU_DEP_4)
	v_fmac_f16_e32 v14, -0.5, v9
	v_add_f16_e32 v9, v0, v6
	v_add_f16_e32 v12, v10, v0
	v_sub_f16_e32 v0, v0, v6
	v_add_f16_e32 v15, v13, v4
	v_fmac_f16_e32 v10, -0.5, v9
	s_delay_alu instid0(VALU_DEP_4) | instskip(NEXT) | instid1(VALU_DEP_4)
	v_add_f16_e32 v6, v12, v6
	v_fmamk_f16 v9, v0, 0xbaee, v14
	v_fmac_f16_e32 v14, 0x3aee, v0
	v_sub_f16_e32 v0, v7, v5
	v_add_f16_e32 v5, v11, v5
	s_delay_alu instid0(VALU_DEP_2) | instskip(SKIP_1) | instid1(VALU_DEP_3)
	v_fmamk_f16 v7, v0, 0x3aee, v10
	v_fmac_f16_e32 v10, 0xbaee, v0
	v_pack_b32_f16 v5, v5, v6
	s_delay_alu instid0(VALU_DEP_3) | instskip(NEXT) | instid1(VALU_DEP_3)
	v_pack_b32_f16 v6, v9, v7
	v_pack_b32_f16 v0, v14, v10
	v_add_f16_e32 v10, v2, v1
	v_add_f16_e32 v14, v8, v2
	v_sub_f16_e32 v2, v2, v1
	ds_store_b32 v211, v5 offset:17496
	ds_store_b32 v211, v6 offset:20412
	;; [unrolled: 1-line block ×3, first 2 shown]
	v_fmac_f16_e32 v8, -0.5, v10
	v_add_f16_e32 v10, v4, v3
	v_sub_f16_e32 v4, v4, v3
	v_add_f16_e32 v0, v14, v1
	v_add_f16_e32 v1, v15, v3
	s_delay_alu instid0(VALU_DEP_4) | instskip(NEXT) | instid1(VALU_DEP_4)
	v_fmac_f16_e32 v13, -0.5, v10
	v_fmamk_f16 v10, v4, 0xbaee, v8
	v_fmac_f16_e32 v8, 0x3aee, v4
	s_delay_alu instid0(VALU_DEP_4) | instskip(NEXT) | instid1(VALU_DEP_4)
	v_pack_b32_f16 v0, v0, v1
	v_fmamk_f16 v4, v2, 0x3aee, v13
	v_fmac_f16_e32 v13, 0xbaee, v2
	s_delay_alu instid0(VALU_DEP_2) | instskip(NEXT) | instid1(VALU_DEP_2)
	v_pack_b32_f16 v1, v10, v4
	v_pack_b32_f16 v2, v8, v13
	ds_store_b32 v212, v0 offset:17496
	ds_store_b32 v212, v1 offset:20412
	;; [unrolled: 1-line block ×3, first 2 shown]
	s_waitcnt lgkmcnt(0)
	s_barrier
	buffer_gl0_inv
	ds_load_2addr_b32 v[2:3], v171 offset1:243
	ds_load_b32 v4, v122 offset:25272
	ds_load_2addr_b32 v[36:37], v188 offset0:8 offset1:251
	s_waitcnt lgkmcnt(2)
	v_lshrrev_b32_e32 v0, 16, v3
	v_mul_f16_e64 v1, v141, v3
	s_waitcnt lgkmcnt(1)
	v_lshrrev_b32_e32 v5, 16, v4
	v_mul_f16_e64 v6, v145, v4
	s_waitcnt lgkmcnt(0)
	v_mul_f16_e64 v25, v226, v37
	v_mul_f16_e64 v38, v141, v0
	v_fma_f16 v0, v120, v0, -v1
	v_mul_f16_e64 v1, v145, v5
	v_fma_f16 v8, v121, v5, -v6
	s_delay_alu instid0(VALU_DEP_4) | instskip(SKIP_1) | instid1(VALU_DEP_4)
	v_fmac_f16_e32 v38, v120, v3
	v_lshrrev_b32_e32 v3, 16, v2
	v_fmac_f16_e32 v1, v121, v4
	v_mul_f16_e64 v4, v167, v2
	s_delay_alu instid0(VALU_DEP_3) | instskip(NEXT) | instid1(VALU_DEP_2)
	v_mul_f16_e64 v39, v167, v3
	v_fma_f16 v40, v118, v3, -v4
	s_delay_alu instid0(VALU_DEP_2) | instskip(SKIP_4) | instid1(VALU_DEP_2)
	v_fmac_f16_e32 v39, v118, v2
	ds_load_2addr_b32 v[2:3], v146 offset0:8 offset1:251
	s_waitcnt lgkmcnt(0)
	v_lshrrev_b32_e32 v4, 16, v3
	v_mul_f16_e64 v5, v254, v3
	v_mul_f16_e64 v9, v254, v4
	s_delay_alu instid0(VALU_DEP_2) | instskip(SKIP_2) | instid1(VALU_DEP_4)
	v_fma_f16 v10, v119, v4, -v5
	v_lshrrev_b32_e32 v4, 16, v2
	v_mul_f16_e64 v5, v253, v2
	v_fmac_f16_e32 v9, v119, v3
	s_delay_alu instid0(VALU_DEP_3) | instskip(NEXT) | instid1(VALU_DEP_3)
	v_mul_f16_e64 v11, v253, v4
	v_fma_f16 v12, v117, v4, -v5
	s_delay_alu instid0(VALU_DEP_2)
	v_fmac_f16_e32 v11, v117, v2
	ds_load_2addr_b32 v[2:3], v149 offset0:10 offset1:253
	s_waitcnt lgkmcnt(0)
	v_lshrrev_b32_e32 v6, 16, v3
	v_mul_f16_e64 v7, v252, v3
	v_mul_f16_e64 v4, v251, v2
	s_delay_alu instid0(VALU_DEP_3) | instskip(NEXT) | instid1(VALU_DEP_3)
	v_mul_f16_e64 v15, v252, v6
	v_fma_f16 v41, v116, v6, -v7
	s_delay_alu instid0(VALU_DEP_2) | instskip(SKIP_1) | instid1(VALU_DEP_1)
	v_fmac_f16_e32 v15, v116, v3
	v_lshrrev_b32_e32 v3, 16, v2
	v_mul_f16_e64 v42, v251, v3
	v_fma_f16 v43, v114, v3, -v4
	s_delay_alu instid0(VALU_DEP_2) | instskip(SKIP_4) | instid1(VALU_DEP_2)
	v_fmac_f16_e32 v42, v114, v2
	ds_load_2addr_b32 v[2:3], v161 offset0:2 offset1:245
	s_waitcnt lgkmcnt(0)
	v_lshrrev_b32_e32 v4, 16, v3
	v_mul_f16_e64 v5, v166, v3
	v_mul_f16_e64 v13, v166, v4
	s_delay_alu instid0(VALU_DEP_2) | instskip(SKIP_2) | instid1(VALU_DEP_4)
	v_fma_f16 v14, v115, v4, -v5
	v_lshrrev_b32_e32 v4, 16, v2
	v_mul_f16_e64 v5, v250, v2
	v_fmac_f16_e32 v13, v115, v3
	s_delay_alu instid0(VALU_DEP_3) | instskip(NEXT) | instid1(VALU_DEP_3)
	v_mul_f16_e64 v16, v250, v4
	v_fma_f16 v17, v113, v4, -v5
	s_delay_alu instid0(VALU_DEP_2)
	v_fmac_f16_e32 v16, v113, v2
	ds_load_2addr_b32 v[2:3], v163 offset0:4 offset1:247
	s_waitcnt lgkmcnt(0)
	v_lshrrev_b32_e32 v6, 16, v3
	v_mul_f16_e64 v7, v165, v3
	v_mul_f16_e64 v4, v240, v2
	s_delay_alu instid0(VALU_DEP_3) | instskip(NEXT) | instid1(VALU_DEP_3)
	v_mul_f16_e64 v18, v165, v6
	v_fma_f16 v33, v112, v6, -v7
	s_delay_alu instid0(VALU_DEP_2) | instskip(SKIP_1) | instid1(VALU_DEP_2)
	v_fmac_f16_e32 v18, v112, v3
	v_lshrrev_b32_e32 v3, 16, v2
	v_sub_f16_e32 v46, v18, v16
	s_delay_alu instid0(VALU_DEP_2) | instskip(SKIP_1) | instid1(VALU_DEP_2)
	v_mul_f16_e64 v35, v240, v3
	v_fma_f16 v30, v104, v3, -v4
	v_fmac_f16_e32 v35, v104, v2
	ds_load_2addr_b32 v[2:3], v181 offset0:12 offset1:255
	s_waitcnt lgkmcnt(0)
	v_lshrrev_b32_e32 v4, 16, v3
	v_mul_f16_e64 v5, v239, v3
	s_delay_alu instid0(VALU_DEP_2) | instskip(NEXT) | instid1(VALU_DEP_2)
	v_mul_f16_e64 v19, v239, v4
	v_fma_f16 v20, v105, v4, -v5
	v_lshrrev_b32_e32 v4, 16, v2
	v_mul_f16_e64 v5, v236, v2
	s_delay_alu instid0(VALU_DEP_4) | instskip(NEXT) | instid1(VALU_DEP_3)
	v_fmac_f16_e32 v19, v105, v3
	v_mul_f16_e64 v21, v236, v4
	s_delay_alu instid0(VALU_DEP_3) | instskip(NEXT) | instid1(VALU_DEP_2)
	v_fma_f16 v22, v103, v4, -v5
	v_fmac_f16_e32 v21, v103, v2
	ds_load_2addr_b32 v[2:3], v179 offset0:6 offset1:249
	s_waitcnt lgkmcnt(0)
	v_lshrrev_b32_e32 v6, 16, v3
	v_mul_f16_e64 v7, v235, v3
	v_mul_f16_e64 v5, v230, v2
	s_delay_alu instid0(VALU_DEP_3) | instskip(NEXT) | instid1(VALU_DEP_3)
	v_mul_f16_e64 v23, v235, v6
	v_fma_f16 v27, v102, v6, -v7
	s_delay_alu instid0(VALU_DEP_2) | instskip(SKIP_1) | instid1(VALU_DEP_1)
	v_fmac_f16_e32 v23, v102, v3
	v_lshrrev_b32_e32 v3, 16, v2
	v_mul_f16_e64 v4, v230, v3
	v_fma_f16 v5, v100, v3, -v5
	s_delay_alu instid0(VALU_DEP_2)
	v_fmac_f16_e32 v4, v100, v2
	ds_load_2addr_b32 v[2:3], v187 offset0:6 offset1:249
	s_waitcnt lgkmcnt(0)
	v_lshrrev_b32_e32 v6, 16, v3
	v_mul_f16_e64 v7, v227, v3
	v_mul_f16_e64 v24, v225, v2
	s_delay_alu instid0(VALU_DEP_3) | instskip(NEXT) | instid1(VALU_DEP_3)
	v_mul_f16_e64 v26, v227, v6
	v_fma_f16 v6, v101, v6, -v7
	s_delay_alu instid0(VALU_DEP_2) | instskip(SKIP_1) | instid1(VALU_DEP_1)
	v_fmac_f16_e32 v26, v101, v3
	v_lshrrev_b32_e32 v3, 16, v2
	v_mul_f16_e64 v7, v225, v3
	v_fma_f16 v31, v99, v3, -v24
	s_delay_alu instid0(VALU_DEP_4) | instskip(NEXT) | instid1(VALU_DEP_3)
	v_add_f16_e32 v24, v4, v26
	v_fmac_f16_e32 v7, v99, v2
	v_lshrrev_b32_e32 v2, 16, v37
	s_delay_alu instid0(VALU_DEP_1)
	v_mul_f16_e64 v28, v226, v2
	v_fma_f16 v29, v98, v2, -v25
	ds_load_2addr_b32 v[2:3], v122 offset1:243
	v_fmac_f16_e32 v28, v98, v37
	s_waitcnt lgkmcnt(0)
	v_lshrrev_b32_e32 v32, 16, v3
	v_add_f16_e32 v34, v3, v4
	v_fmac_f16_e32 v3, -0.5, v24
	v_add_f16_e32 v24, v5, v6
	v_sub_f16_e32 v4, v4, v26
	v_add_f16_e32 v37, v32, v5
	v_sub_f16_e32 v5, v5, v6
	v_add_f16_e32 v26, v34, v26
	v_fmac_f16_e32 v32, -0.5, v24
	v_sub_f16_e32 v34, v23, v21
	v_add_f16_e32 v6, v37, v6
	v_fmamk_f16 v24, v5, 0xbaee, v3
	v_fmac_f16_e32 v3, 0x3aee, v5
	v_fmamk_f16 v25, v4, 0x3aee, v32
	v_fmac_f16_e32 v32, 0xbaee, v4
	v_add_f16_e32 v4, v28, v7
	v_add_f16_e32 v5, v29, v31
	v_pack_b32_f16 v26, v26, v6
	s_delay_alu instid0(VALU_DEP_4) | instskip(NEXT) | instid1(VALU_DEP_4)
	v_pack_b32_f16 v32, v3, v32
	v_fma_f16 v4, -0.5, v4, v2
	v_lshrrev_b32_e32 v3, 16, v2
	v_add_f16_e32 v2, v2, v28
	s_delay_alu instid0(VALU_DEP_2) | instskip(SKIP_1) | instid1(VALU_DEP_3)
	v_add_f16_e32 v44, v3, v29
	v_fmac_f16_e32 v3, -0.5, v5
	v_add_f16_e32 v2, v2, v7
	v_sub_f16_e32 v5, v28, v7
	v_sub_f16_e32 v7, v29, v31
	s_delay_alu instid0(VALU_DEP_1) | instskip(SKIP_1) | instid1(VALU_DEP_4)
	v_fmamk_f16 v28, v7, 0xbaee, v4
	v_fmac_f16_e32 v4, 0x3aee, v7
	v_fmamk_f16 v7, v5, 0x3aee, v3
	v_fmac_f16_e32 v3, 0xbaee, v5
	v_add_f16_e32 v5, v44, v31
	s_delay_alu instid0(VALU_DEP_3) | instskip(NEXT) | instid1(VALU_DEP_3)
	v_pack_b32_f16 v7, v28, v7
	v_pack_b32_f16 v3, v4, v3
	s_delay_alu instid0(VALU_DEP_3)
	v_pack_b32_f16 v28, v2, v5
	ds_store_b32 v122, v7 offset:8748
	ds_store_b32 v122, v3 offset:17496
	ds_load_2addr_b32 v[2:3], v176 offset0:6 offset1:249
	ds_load_2addr_b32 v[4:5], v159 offset0:12 offset1:255
	;; [unrolled: 1-line block ×3, first 2 shown]
	ds_store_2addr_b32 v122, v28, v26 offset1:243
	v_add_f16_e32 v28, v27, v22
	s_waitcnt lgkmcnt(3)
	v_lshrrev_b32_e32 v29, 16, v2
	v_lshrrev_b32_e32 v37, 16, v3
	s_waitcnt lgkmcnt(2)
	v_lshrrev_b32_e32 v44, 16, v4
	s_waitcnt lgkmcnt(1)
	v_add_f16_e32 v50, v7, v39
	v_add_f16_e32 v26, v29, v27
	v_fmac_f16_e32 v29, -0.5, v28
	v_add_f16_e32 v28, v23, v21
	s_delay_alu instid0(VALU_DEP_1) | instskip(SKIP_1) | instid1(VALU_DEP_1)
	v_fma_f16 v31, -0.5, v28, v2
	v_sub_f16_e32 v28, v27, v22
	v_fmamk_f16 v27, v28, 0xbaee, v31
	v_fmac_f16_e32 v31, 0x3aee, v28
	v_fmamk_f16 v28, v34, 0x3aee, v29
	v_fmac_f16_e32 v29, 0xbaee, v34
	v_add_f16_e32 v34, v33, v17
	s_delay_alu instid0(VALU_DEP_2)
	v_pack_b32_f16 v29, v31, v29
	v_add_nc_u32_e32 v31, 0x4800, v122
	ds_store_2addr_b32 v31, v32, v29 offset0:9 offset1:252
	v_add_f16_e32 v31, v35, v19
	v_add_f16_e32 v29, v3, v35
	;; [unrolled: 1-line block ×3, first 2 shown]
	s_delay_alu instid0(VALU_DEP_3) | instskip(SKIP_1) | instid1(VALU_DEP_1)
	v_fmac_f16_e32 v3, -0.5, v31
	v_add_f16_e32 v31, v30, v20
	v_fmac_f16_e32 v37, -0.5, v31
	v_sub_f16_e32 v31, v30, v20
	s_delay_alu instid0(VALU_DEP_1) | instskip(SKIP_4) | instid1(VALU_DEP_1)
	v_fmamk_f16 v30, v31, 0xbaee, v3
	v_fmac_f16_e32 v3, 0x3aee, v31
	v_add_f16_e32 v31, v44, v33
	v_fmac_f16_e32 v44, -0.5, v34
	v_add_f16_e32 v34, v18, v16
	v_fma_f16 v45, -0.5, v34, v4
	v_sub_f16_e32 v34, v33, v17
	s_delay_alu instid0(VALU_DEP_1) | instskip(SKIP_4) | instid1(VALU_DEP_2)
	v_fmamk_f16 v33, v34, 0xbaee, v45
	v_fmac_f16_e32 v45, 0x3aee, v34
	v_fmamk_f16 v34, v46, 0x3aee, v44
	v_fmac_f16_e32 v44, 0xbaee, v46
	v_sub_f16_e32 v46, v35, v19
	v_pack_b32_f16 v44, v45, v44
	s_delay_alu instid0(VALU_DEP_2) | instskip(SKIP_2) | instid1(VALU_DEP_2)
	v_fmamk_f16 v35, v46, 0x3aee, v37
	v_fmac_f16_e32 v37, 0xbaee, v46
	v_add_f16_e32 v46, v41, v12
	v_pack_b32_f16 v3, v3, v37
	v_add_nc_u32_e32 v37, 0x4fa0, v122
	ds_store_2addr_b32 v37, v3, v44 offset0:7 offset1:250
	v_add_f16_e32 v37, v42, v13
	v_lshrrev_b32_e32 v44, 16, v5
	v_add_f16_e32 v3, v5, v42
	s_delay_alu instid0(VALU_DEP_3) | instskip(SKIP_1) | instid1(VALU_DEP_4)
	v_fmac_f16_e32 v5, -0.5, v37
	v_add_f16_e32 v37, v43, v14
	v_add_f16_e32 v45, v44, v43
	s_delay_alu instid0(VALU_DEP_4) | instskip(NEXT) | instid1(VALU_DEP_3)
	v_add_f16_e32 v3, v3, v13
	v_fmac_f16_e32 v44, -0.5, v37
	v_sub_f16_e32 v37, v43, v14
	s_delay_alu instid0(VALU_DEP_1) | instskip(SKIP_2) | instid1(VALU_DEP_1)
	v_fmamk_f16 v43, v37, 0xbaee, v5
	v_fmac_f16_e32 v5, 0x3aee, v37
	v_lshrrev_b32_e32 v37, 16, v6
	v_add_f16_e32 v47, v37, v41
	v_fmac_f16_e32 v37, -0.5, v46
	v_add_f16_e32 v46, v15, v11
	v_sub_f16_e32 v41, v41, v12
	s_delay_alu instid0(VALU_DEP_2) | instskip(NEXT) | instid1(VALU_DEP_1)
	v_fma_f16 v46, -0.5, v46, v6
	v_fmamk_f16 v48, v41, 0xbaee, v46
	v_fmac_f16_e32 v46, 0x3aee, v41
	v_sub_f16_e32 v41, v15, v11
	s_delay_alu instid0(VALU_DEP_1) | instskip(SKIP_2) | instid1(VALU_DEP_2)
	v_fmamk_f16 v49, v41, 0x3aee, v37
	v_fmac_f16_e32 v37, 0xbaee, v41
	v_sub_f16_e32 v41, v42, v13
	v_pack_b32_f16 v37, v46, v37
	s_delay_alu instid0(VALU_DEP_2) | instskip(SKIP_2) | instid1(VALU_DEP_2)
	v_fmamk_f16 v42, v41, 0x3aee, v44
	v_fmac_f16_e32 v44, 0xbaee, v41
	v_add_nc_u32_e32 v41, 0x5740, v122
	v_pack_b32_f16 v5, v5, v44
	ds_store_2addr_b32 v41, v5, v37 offset0:5 offset1:248
	v_add_f16_e32 v5, v38, v1
	v_lshrrev_b32_e32 v37, 16, v36
	v_add_f16_e32 v41, v36, v38
	s_delay_alu instid0(VALU_DEP_3) | instskip(SKIP_1) | instid1(VALU_DEP_4)
	v_fmac_f16_e32 v36, -0.5, v5
	v_add_f16_e32 v5, v0, v8
	v_add_f16_e32 v44, v37, v0
	v_sub_f16_e32 v0, v0, v8
	s_delay_alu instid0(VALU_DEP_3) | instskip(NEXT) | instid1(VALU_DEP_2)
	v_fmac_f16_e32 v37, -0.5, v5
	v_fmamk_f16 v5, v0, 0xbaee, v36
	v_fmac_f16_e32 v36, 0x3aee, v0
	v_sub_f16_e32 v0, v38, v1
	s_delay_alu instid0(VALU_DEP_1) | instskip(SKIP_1) | instid1(VALU_DEP_1)
	v_fmamk_f16 v46, v0, 0x3aee, v37
	v_fmac_f16_e32 v37, 0xbaee, v0
	v_pack_b32_f16 v0, v36, v37
	v_add_f16_e32 v36, v39, v9
	v_lshrrev_b32_e32 v37, 16, v7
	s_delay_alu instid0(VALU_DEP_2) | instskip(SKIP_1) | instid1(VALU_DEP_3)
	v_fmac_f16_e32 v7, -0.5, v36
	v_add_f16_e32 v36, v40, v10
	v_add_f16_e32 v51, v37, v40
	s_delay_alu instid0(VALU_DEP_2) | instskip(SKIP_1) | instid1(VALU_DEP_1)
	v_fmac_f16_e32 v37, -0.5, v36
	v_sub_f16_e32 v36, v40, v10
	v_fmamk_f16 v52, v36, 0xbaee, v7
	v_fmac_f16_e32 v7, 0x3aee, v36
	v_sub_f16_e32 v36, v39, v9
	s_delay_alu instid0(VALU_DEP_1) | instskip(SKIP_2) | instid1(VALU_DEP_2)
	v_fmamk_f16 v53, v36, 0x3aee, v37
	v_fmac_f16_e32 v37, 0xbaee, v36
	v_add_nc_u32_e32 v36, 0x5ec0, v122
	v_pack_b32_f16 v7, v7, v37
	ds_store_2addr_b32 v36, v7, v0 offset0:11 offset1:254
	scratch_load_b64 v[36:37], off, off offset:176 ; 8-byte Folded Reload
	s_waitcnt vmcnt(0)
	v_mov_b32_e32 v7, v36
	s_delay_alu instid0(VALU_DEP_1) | instskip(NEXT) | instid1(VALU_DEP_1)
	v_mad_u64_u32 v[36:37], null, s10, v7, 0
	v_mov_b32_e32 v0, v37
	s_delay_alu instid0(VALU_DEP_1) | instskip(SKIP_3) | instid1(VALU_DEP_2)
	v_mad_u64_u32 v[37:38], null, s11, v7, v[0:1]
	v_mad_u64_u32 v[38:39], null, s8, v147, 0
	s_mov_b32 s10, 0x3fb013fb
	s_mov_b32 s11, 0x3f23fb01
	v_lshlrev_b64 v[36:37], 2, v[36:37]
	s_delay_alu instid0(VALU_DEP_2) | instskip(NEXT) | instid1(VALU_DEP_1)
	v_mov_b32_e32 v0, v39
	v_mad_u64_u32 v[39:40], null, s9, v147, v[0:1]
	s_delay_alu instid0(VALU_DEP_3) | instskip(NEXT) | instid1(VALU_DEP_4)
	v_add_co_u32 v0, vcc_lo, s0, v36
	v_add_co_ci_u32_e32 v7, vcc_lo, s1, v37, vcc_lo
	s_delay_alu instid0(VALU_DEP_3) | instskip(NEXT) | instid1(VALU_DEP_1)
	v_lshlrev_b64 v[36:37], 2, v[38:39]
	v_add_co_u32 v36, vcc_lo, v0, v36
	s_delay_alu instid0(VALU_DEP_2)
	v_add_co_ci_u32_e32 v37, vcc_lo, v7, v37, vcc_lo
	v_add_f16_e32 v0, v2, v23
	v_add_f16_e32 v2, v4, v18
	;; [unrolled: 1-line block ×3, first 2 shown]
	v_pack_b32_f16 v6, v24, v25
	v_pack_b32_f16 v7, v27, v28
	v_add_f16_e32 v0, v0, v21
	v_add_f16_e32 v15, v32, v20
	ds_store_2addr_b32 v179, v6, v7 offset0:6 offset1:249
	v_add_f16_e32 v6, v26, v22
	v_add_f16_e32 v7, v29, v19
	s_delay_alu instid0(VALU_DEP_2) | instskip(NEXT) | instid1(VALU_DEP_2)
	v_pack_b32_f16 v0, v0, v6
	v_pack_b32_f16 v6, v7, v15
	ds_store_2addr_b32 v176, v0, v6 offset0:6 offset1:249
	v_pack_b32_f16 v0, v30, v35
	v_pack_b32_f16 v6, v33, v34
	ds_store_2addr_b32 v163, v0, v6 offset0:4 offset1:247
	v_add_f16_e32 v0, v2, v16
	v_add_f16_e32 v2, v31, v17
	;; [unrolled: 1-line block ×3, first 2 shown]
	s_delay_alu instid0(VALU_DEP_2) | instskip(NEXT) | instid1(VALU_DEP_2)
	v_pack_b32_f16 v0, v0, v2
	v_pack_b32_f16 v2, v3, v6
	v_add_f16_e32 v3, v50, v9
	v_lshrrev_b32_e32 v9, 16, v178
	ds_store_2addr_b32 v159, v0, v2 offset0:12 offset1:255
	v_pack_b32_f16 v0, v43, v42
	v_pack_b32_f16 v2, v48, v49
	ds_store_2addr_b32 v149, v0, v2 offset0:10 offset1:253
	v_add_f16_e32 v0, v4, v11
	v_add_f16_e32 v2, v47, v12
	;; [unrolled: 1-line block ×3, first 2 shown]
	s_delay_alu instid0(VALU_DEP_2) | instskip(NEXT) | instid1(VALU_DEP_2)
	v_pack_b32_f16 v0, v0, v2
	v_pack_b32_f16 v2, v3, v4
	ds_store_2addr_b32 v144, v0, v2 offset0:2 offset1:245
	v_pack_b32_f16 v0, v52, v53
	v_pack_b32_f16 v2, v5, v46
	ds_store_2addr_b32 v171, v0, v2 offset1:243
	v_add_f16_e32 v0, v41, v1
	v_add_f16_e32 v1, v44, v8
	s_delay_alu instid0(VALU_DEP_1)
	v_pack_b32_f16 v0, v0, v1
	ds_store_b32 v122, v0 offset:7776
	s_waitcnt lgkmcnt(0)
	s_barrier
	buffer_gl0_inv
	s_clause 0x1
	scratch_load_b32 v28, off, off offset:200
	scratch_load_b32 v29, off, off offset:204
	ds_load_2addr_b32 v[2:3], v122 offset1:243
	s_clause 0x9
	scratch_load_b32 v26, off, off offset:192
	scratch_load_b32 v27, off, off offset:196
	;; [unrolled: 1-line block ×10, first 2 shown]
	s_waitcnt lgkmcnt(0)
	v_lshrrev_b32_e32 v8, 16, v2
	v_mul_f16_e32 v0, v9, v2
	s_delay_alu instid0(VALU_DEP_2) | instskip(NEXT) | instid1(VALU_DEP_2)
	v_mul_f16_e32 v12, v9, v8
	v_fma_f16 v0, v178, v8, -v0
	s_delay_alu instid0(VALU_DEP_2) | instskip(NEXT) | instid1(VALU_DEP_2)
	v_fmac_f16_e64 v12, v178, v2
	v_cvt_f32_f16_e32 v0, v0
	v_lshrrev_b32_e32 v2, 16, v3
	s_delay_alu instid0(VALU_DEP_3) | instskip(NEXT) | instid1(VALU_DEP_3)
	v_cvt_f32_f16_e32 v12, v12
	v_cvt_f64_f32_e32 v[0:1], v0
	s_delay_alu instid0(VALU_DEP_1) | instskip(NEXT) | instid1(VALU_DEP_1)
	v_mul_f64 v[4:5], v[0:1], s[10:11]
	v_and_or_b32 v0, 0x1ff, v5, v4
	v_lshrrev_b32_e32 v1, 8, v5
	v_bfe_u32 v10, v5, 20, 11
	v_lshrrev_b32_e32 v5, 16, v5
	s_delay_alu instid0(VALU_DEP_4) | instskip(SKIP_1) | instid1(VALU_DEP_1)
	v_cmp_ne_u32_e32 vcc_lo, 0, v0
	v_cndmask_b32_e64 v0, 0, 1, vcc_lo
	v_and_or_b32 v4, 0xffe, v1, v0
	v_sub_nc_u32_e32 v0, 0x3f1, v10
	v_add_nc_u32_e32 v10, 0xfffffc10, v10
	s_delay_alu instid0(VALU_DEP_3) | instskip(NEXT) | instid1(VALU_DEP_3)
	v_or_b32_e32 v1, 0x1000, v4
	v_med3_i32 v0, v0, 0, 13
	s_delay_alu instid0(VALU_DEP_3) | instskip(NEXT) | instid1(VALU_DEP_2)
	v_cmp_gt_i32_e64 s4, 1, v10
	v_lshrrev_b32_e32 v15, v0, v1
	s_delay_alu instid0(VALU_DEP_1) | instskip(NEXT) | instid1(VALU_DEP_1)
	v_lshlrev_b32_e32 v0, v0, v15
	v_cmp_ne_u32_e32 vcc_lo, v0, v1
	ds_load_2addr_b32 v[0:1], v188 offset0:8 offset1:251
	s_waitcnt lgkmcnt(0)
	v_lshrrev_b32_e32 v17, 16, v1
	s_waitcnt vmcnt(11)
	v_mul_f16_e32 v6, v28, v1
	s_waitcnt vmcnt(10)
	s_delay_alu instid0(VALU_DEP_1) | instskip(NEXT) | instid1(VALU_DEP_1)
	v_fma_f16 v6, v29, v17, -v6
	v_cvt_f32_f16_e32 v6, v6
	s_delay_alu instid0(VALU_DEP_1) | instskip(NEXT) | instid1(VALU_DEP_1)
	v_cvt_f64_f32_e32 v[6:7], v6
	v_mul_f64 v[13:14], v[6:7], s[10:11]
	s_delay_alu instid0(VALU_DEP_1) | instskip(SKIP_3) | instid1(VALU_DEP_4)
	v_and_or_b32 v6, 0x1ff, v14, v13
	v_lshrrev_b32_e32 v7, 8, v14
	v_bfe_u32 v20, v14, 20, 11
	v_lshrrev_b32_e32 v14, 16, v14
	v_cmp_ne_u32_e64 s0, 0, v6
	s_delay_alu instid0(VALU_DEP_1) | instskip(NEXT) | instid1(VALU_DEP_1)
	v_cndmask_b32_e64 v6, 0, 1, s0
	v_and_or_b32 v19, 0xffe, v7, v6
	v_sub_nc_u32_e32 v6, 0x3f1, v20
	s_delay_alu instid0(VALU_DEP_2) | instskip(NEXT) | instid1(VALU_DEP_2)
	v_or_b32_e32 v7, 0x1000, v19
	v_med3_i32 v6, v6, 0, 13
	s_delay_alu instid0(VALU_DEP_1) | instskip(NEXT) | instid1(VALU_DEP_1)
	v_lshrrev_b32_e32 v21, v6, v7
	v_lshlrev_b32_e32 v6, v6, v21
	s_delay_alu instid0(VALU_DEP_1) | instskip(SKIP_1) | instid1(VALU_DEP_1)
	v_cmp_ne_u32_e64 s1, v6, v7
	v_lshrrev_b32_e32 v6, 16, v180
	v_mul_f16_e32 v8, v6, v2
	v_mul_f16_e32 v6, v6, v3
	s_delay_alu instid0(VALU_DEP_2) | instskip(NEXT) | instid1(VALU_DEP_2)
	v_fmac_f16_e64 v8, v180, v3
	v_fma_f16 v18, v180, v2, -v6
	ds_load_2addr_b32 v[6:7], v187 offset0:6 offset1:249
	s_waitcnt lgkmcnt(0)
	v_lshrrev_b32_e32 v22, 16, v6
	s_waitcnt vmcnt(9)
	v_mul_f16_e32 v2, v26, v6
	s_waitcnt vmcnt(8)
	s_delay_alu instid0(VALU_DEP_1) | instskip(NEXT) | instid1(VALU_DEP_1)
	v_fma_f16 v2, v27, v22, -v2
	v_cvt_f32_f16_e32 v2, v2
	s_delay_alu instid0(VALU_DEP_1) | instskip(NEXT) | instid1(VALU_DEP_1)
	v_cvt_f64_f32_e32 v[2:3], v2
	v_mul_f64 v[2:3], v[2:3], s[10:11]
	s_delay_alu instid0(VALU_DEP_1) | instskip(SKIP_1) | instid1(VALU_DEP_2)
	v_and_or_b32 v2, 0x1ff, v3, v2
	v_lshrrev_b32_e32 v9, 8, v3
	v_cmp_ne_u32_e64 s0, 0, v2
	s_delay_alu instid0(VALU_DEP_1) | instskip(NEXT) | instid1(VALU_DEP_1)
	v_cndmask_b32_e64 v2, 0, 1, s0
	v_and_or_b32 v2, 0xffe, v9, v2
	v_bfe_u32 v9, v3, 20, 11
	s_delay_alu instid0(VALU_DEP_2) | instskip(NEXT) | instid1(VALU_DEP_2)
	v_or_b32_e32 v16, 0x1000, v2
	v_sub_nc_u32_e32 v11, 0x3f1, v9
	v_add_nc_u32_e32 v9, 0xfffffc10, v9
	s_delay_alu instid0(VALU_DEP_2) | instskip(NEXT) | instid1(VALU_DEP_1)
	v_med3_i32 v13, v11, 0, 13
	v_lshrrev_b32_e32 v11, v13, v16
	s_delay_alu instid0(VALU_DEP_1) | instskip(NEXT) | instid1(VALU_DEP_1)
	v_lshlrev_b32_e32 v13, v13, v11
	v_cmp_ne_u32_e64 s0, v13, v16
	v_cvt_f64_f32_e32 v[12:13], v12
	s_delay_alu instid0(VALU_DEP_1) | instskip(NEXT) | instid1(VALU_DEP_1)
	v_mul_f64 v[12:13], v[12:13], s[10:11]
	v_and_or_b32 v12, 0x1ff, v13, v12
	v_lshrrev_b32_e32 v16, 8, v13
	s_delay_alu instid0(VALU_DEP_2) | instskip(NEXT) | instid1(VALU_DEP_1)
	v_cmp_ne_u32_e64 s2, 0, v12
	v_cndmask_b32_e64 v12, 0, 1, s2
	s_delay_alu instid0(VALU_DEP_1) | instskip(SKIP_2) | instid1(VALU_DEP_3)
	v_and_or_b32 v12, 0xffe, v16, v12
	v_bfe_u32 v16, v13, 20, 11
	v_lshrrev_b32_e32 v13, 16, v13
	v_or_b32_e32 v24, 0x1000, v12
	s_delay_alu instid0(VALU_DEP_3) | instskip(SKIP_1) | instid1(VALU_DEP_2)
	v_sub_nc_u32_e32 v23, 0x3f1, v16
	v_add_nc_u32_e32 v16, 0xfffffc10, v16
	v_med3_i32 v23, v23, 0, 13
	s_delay_alu instid0(VALU_DEP_1) | instskip(NEXT) | instid1(VALU_DEP_1)
	v_lshrrev_b32_e32 v25, v23, v24
	v_lshlrev_b32_e32 v23, v23, v25
	s_delay_alu instid0(VALU_DEP_1) | instskip(SKIP_1) | instid1(VALU_DEP_2)
	v_cmp_ne_u32_e64 s2, v23, v24
	v_lshl_or_b32 v24, v16, 12, v12
	v_cndmask_b32_e64 v23, 0, 1, s2
	v_cmp_gt_i32_e64 s2, 1, v16
	s_delay_alu instid0(VALU_DEP_2) | instskip(SKIP_2) | instid1(VALU_DEP_1)
	v_or_b32_e32 v23, v25, v23
	scratch_load_b32 v25, off, off offset:168 ; 4-byte Folded Reload
	v_cndmask_b32_e64 v23, v24, v23, s2
	v_and_b32_e32 v24, 7, v23
	s_delay_alu instid0(VALU_DEP_1) | instskip(SKIP_4) | instid1(VALU_DEP_4)
	v_cmp_lt_i32_e64 s2, 5, v24
	v_cmp_eq_u32_e64 s3, 3, v24
	v_cndmask_b32_e64 v24, 0, 1, vcc_lo
	v_cmp_ne_u32_e32 vcc_lo, 0, v12
	v_lshl_or_b32 v12, v10, 12, v4
	s_or_b32 s2, s3, s2
	s_delay_alu instid0(VALU_DEP_3) | instskip(SKIP_1) | instid1(VALU_DEP_2)
	v_or_b32_e32 v15, v15, v24
	v_cmp_ne_u32_e64 s3, 0, v4
	v_cndmask_b32_e64 v12, v12, v15, s4
	v_lshrrev_b32_e32 v15, 2, v23
	v_cndmask_b32_e64 v23, 0, 1, vcc_lo
	v_cmp_eq_u32_e32 vcc_lo, 0x40f, v16
	s_delay_alu instid0(VALU_DEP_4) | instskip(NEXT) | instid1(VALU_DEP_4)
	v_lshrrev_b32_e32 v4, 2, v12
	v_add_co_ci_u32_e64 v15, s2, 0, v15, s2
	v_cmp_gt_i32_e64 s2, 31, v16
	v_lshl_or_b32 v23, v23, 9, 0x7c00
	v_and_b32_e32 v16, 7, v12
	v_cndmask_b32_e64 v12, 0, 1, s3
	s_delay_alu instid0(VALU_DEP_4) | instskip(NEXT) | instid1(VALU_DEP_3)
	v_cndmask_b32_e64 v15, 0x7c00, v15, s2
	v_cmp_eq_u32_e64 s2, 3, v16
	s_delay_alu instid0(VALU_DEP_3) | instskip(NEXT) | instid1(VALU_DEP_3)
	v_lshl_or_b32 v12, v12, 9, 0x7c00
	v_cndmask_b32_e32 v15, v15, v23, vcc_lo
	v_cmp_lt_i32_e32 vcc_lo, 5, v16
	s_delay_alu instid0(VALU_DEP_4) | instskip(SKIP_4) | instid1(VALU_DEP_2)
	s_or_b32 vcc_lo, s2, vcc_lo
	s_mul_i32 s2, s9, 0x222c
	v_add_co_ci_u32_e32 v4, vcc_lo, 0, v4, vcc_lo
	v_cmp_gt_i32_e32 vcc_lo, 31, v10
	s_add_i32 s7, s7, s2
	v_cndmask_b32_e32 v4, 0x7c00, v4, vcc_lo
	v_cmp_eq_u32_e32 vcc_lo, 0x40f, v10
	v_and_or_b32 v10, 0x8000, v13, v15
	s_delay_alu instid0(VALU_DEP_3) | instskip(SKIP_2) | instid1(VALU_DEP_3)
	v_cndmask_b32_e32 v4, v4, v12, vcc_lo
	v_add_co_u32 v15, vcc_lo, v36, s12
	v_add_co_ci_u32_e32 v16, vcc_lo, s7, v37, vcc_lo
	v_and_or_b32 v4, 0x8000, v5, v4
	v_and_b32_e32 v5, 0xffff, v10
	s_delay_alu instid0(VALU_DEP_1) | instskip(SKIP_4) | instid1(VALU_DEP_1)
	v_lshl_or_b32 v4, v4, 16, v5
	global_store_b32 v[36:37], v4, off
	v_cvt_f32_f16_e32 v4, v18
	scratch_load_b32 v36, off, off offset:100 ; 4-byte Folded Reload
	v_cvt_f64_f32_e32 v[4:5], v4
	v_mul_f64 v[4:5], v[4:5], s[10:11]
	s_delay_alu instid0(VALU_DEP_1) | instskip(SKIP_3) | instid1(VALU_DEP_4)
	v_and_or_b32 v4, 0x1ff, v5, v4
	v_lshrrev_b32_e32 v10, 8, v5
	v_bfe_u32 v12, v5, 20, 11
	v_lshrrev_b32_e32 v5, 16, v5
	v_cmp_ne_u32_e32 vcc_lo, 0, v4
	v_cndmask_b32_e64 v4, 0, 1, vcc_lo
	s_delay_alu instid0(VALU_DEP_1) | instskip(SKIP_2) | instid1(VALU_DEP_3)
	v_and_or_b32 v10, 0xffe, v10, v4
	v_sub_nc_u32_e32 v4, 0x3f1, v12
	v_add_nc_u32_e32 v12, 0xfffffc10, v12
	v_or_b32_e32 v18, 0x1000, v10
	s_delay_alu instid0(VALU_DEP_3) | instskip(SKIP_1) | instid1(VALU_DEP_2)
	v_med3_i32 v4, v4, 0, 13
	v_cmp_ne_u32_e64 s5, 0, v10
	v_lshrrev_b32_e32 v13, v4, v18
	s_delay_alu instid0(VALU_DEP_1) | instskip(NEXT) | instid1(VALU_DEP_1)
	v_lshlrev_b32_e32 v4, v4, v13
	v_cmp_ne_u32_e32 vcc_lo, v4, v18
	v_mul_f16_e32 v4, v28, v17
	s_delay_alu instid0(VALU_DEP_1) | instskip(NEXT) | instid1(VALU_DEP_1)
	v_fmac_f16_e32 v4, v29, v1
	v_cvt_f32_f16_e32 v1, v4
	s_delay_alu instid0(VALU_DEP_1) | instskip(NEXT) | instid1(VALU_DEP_1)
	v_cvt_f64_f32_e32 v[17:18], v1
	v_mul_f64 v[17:18], v[17:18], s[10:11]
	s_delay_alu instid0(VALU_DEP_1) | instskip(SKIP_1) | instid1(VALU_DEP_2)
	v_and_or_b32 v1, 0x1ff, v18, v17
	v_lshrrev_b32_e32 v4, 8, v18
	v_cmp_ne_u32_e64 s2, 0, v1
	s_delay_alu instid0(VALU_DEP_1) | instskip(NEXT) | instid1(VALU_DEP_1)
	v_cndmask_b32_e64 v1, 0, 1, s2
	v_and_or_b32 v1, 0xffe, v4, v1
	v_bfe_u32 v4, v18, 20, 11
	s_delay_alu instid0(VALU_DEP_2) | instskip(NEXT) | instid1(VALU_DEP_2)
	v_or_b32_e32 v23, 0x1000, v1
	v_sub_nc_u32_e32 v17, 0x3f1, v4
	v_add_nc_u32_e32 v4, 0xfffffc10, v4
	s_delay_alu instid0(VALU_DEP_2) | instskip(NEXT) | instid1(VALU_DEP_1)
	v_med3_i32 v17, v17, 0, 13
	v_lshrrev_b32_e32 v24, v17, v23
	s_delay_alu instid0(VALU_DEP_1) | instskip(NEXT) | instid1(VALU_DEP_1)
	v_lshlrev_b32_e32 v17, v17, v24
	v_cmp_ne_u32_e64 s2, v17, v23
	v_lshl_or_b32 v23, v4, 12, v1
	s_delay_alu instid0(VALU_DEP_2) | instskip(SKIP_1) | instid1(VALU_DEP_2)
	v_cndmask_b32_e64 v17, 0, 1, s2
	v_cmp_gt_i32_e64 s2, 1, v4
	v_or_b32_e32 v17, v24, v17
	s_delay_alu instid0(VALU_DEP_1) | instskip(NEXT) | instid1(VALU_DEP_1)
	v_cndmask_b32_e64 v17, v23, v17, s2
	v_and_b32_e32 v23, 7, v17
	v_lshrrev_b32_e32 v17, 2, v17
	s_delay_alu instid0(VALU_DEP_2) | instskip(SKIP_4) | instid1(VALU_DEP_4)
	v_cmp_lt_i32_e64 s2, 5, v23
	v_cmp_eq_u32_e64 s3, 3, v23
	v_cndmask_b32_e64 v23, 0, 1, s1
	v_cmp_ne_u32_e64 s1, 0, v1
	v_add_nc_u32_e32 v1, 0xfffffc10, v20
	s_or_b32 s2, s3, s2
	s_delay_alu instid0(VALU_DEP_3) | instskip(SKIP_1) | instid1(VALU_DEP_3)
	v_or_b32_e32 v21, v21, v23
	v_add_co_ci_u32_e64 v17, s2, 0, v17, s2
	v_lshl_or_b32 v20, v1, 12, v19
	v_cmp_gt_i32_e64 s4, 1, v1
	v_cmp_gt_i32_e64 s2, 31, v4
	v_cmp_ne_u32_e64 s3, 0, v19
	s_delay_alu instid0(VALU_DEP_3) | instskip(SKIP_1) | instid1(VALU_DEP_4)
	v_cndmask_b32_e64 v20, v20, v21, s4
	v_cndmask_b32_e64 v21, 0, 1, s1
	;; [unrolled: 1-line block ×3, first 2 shown]
	v_cmp_eq_u32_e64 s1, 0x40f, v4
	v_cndmask_b32_e64 v19, 0, 1, s3
	s_delay_alu instid0(VALU_DEP_4) | instskip(NEXT) | instid1(VALU_DEP_2)
	v_lshl_or_b32 v21, v21, 9, 0x7c00
	v_lshl_or_b32 v19, v19, 9, 0x7c00
	s_delay_alu instid0(VALU_DEP_2) | instskip(SKIP_1) | instid1(VALU_DEP_1)
	v_cndmask_b32_e64 v4, v17, v21, s1
	v_and_b32_e32 v17, 7, v20
	v_cmp_lt_i32_e64 s1, 5, v17
	v_cmp_eq_u32_e64 s2, 3, v17
	v_lshrrev_b32_e32 v17, 16, v18
	v_lshrrev_b32_e32 v18, 2, v20
	s_delay_alu instid0(VALU_DEP_3) | instskip(NEXT) | instid1(VALU_DEP_2)
	s_or_b32 s1, s2, s1
	v_and_or_b32 v4, 0x8000, v17, v4
	s_delay_alu instid0(VALU_DEP_2)
	v_add_co_ci_u32_e64 v18, s1, 0, v18, s1
	v_cmp_gt_i32_e64 s1, 31, v1
	scratch_load_b32 v17, off, off offset:184 ; 4-byte Folded Reload
	v_and_b32_e32 v4, 0xffff, v4
	v_cndmask_b32_e64 v18, 0x7c00, v18, s1
	v_cmp_eq_u32_e64 s1, 0x40f, v1
	s_delay_alu instid0(VALU_DEP_1) | instskip(NEXT) | instid1(VALU_DEP_1)
	v_cndmask_b32_e64 v1, v18, v19, s1
	v_and_or_b32 v1, 0x8000, v14, v1
	v_add_co_u32 v14, s1, v15, s12
	s_delay_alu instid0(VALU_DEP_2)
	v_lshl_or_b32 v1, v1, 16, v4
	v_lshrrev_b32_e32 v4, 16, v7
	global_store_b32 v[15:16], v1, off
	v_add_co_ci_u32_e64 v15, s1, s7, v16, s1
	scratch_load_b32 v16, off, off offset:188 ; 4-byte Folded Reload
	v_mul_f16_e32 v1, v26, v22
	scratch_load_b32 v26, off, off offset:172 ; 4-byte Folded Reload
	v_fmac_f16_e32 v1, v27, v6
	s_delay_alu instid0(VALU_DEP_1) | instskip(SKIP_3) | instid1(VALU_DEP_2)
	v_cvt_f32_f16_e32 v1, v1
	s_waitcnt vmcnt(1)
	v_mul_f16_e32 v6, v16, v4
	v_mul_f16_e32 v16, v16, v7
	v_fmac_f16_e32 v6, v17, v7
	s_delay_alu instid0(VALU_DEP_2) | instskip(SKIP_1) | instid1(VALU_DEP_1)
	v_fma_f16 v18, v17, v4, -v16
	v_cvt_f64_f32_e32 v[16:17], v1
	v_mul_f64 v[16:17], v[16:17], s[10:11]
	s_delay_alu instid0(VALU_DEP_1) | instskip(SKIP_1) | instid1(VALU_DEP_2)
	v_and_or_b32 v1, 0x1ff, v17, v16
	v_lshrrev_b32_e32 v4, 8, v17
	v_cmp_ne_u32_e64 s1, 0, v1
	s_delay_alu instid0(VALU_DEP_1) | instskip(NEXT) | instid1(VALU_DEP_1)
	v_cndmask_b32_e64 v1, 0, 1, s1
	v_and_or_b32 v1, 0xffe, v4, v1
	v_bfe_u32 v4, v17, 20, 11
	s_delay_alu instid0(VALU_DEP_2) | instskip(NEXT) | instid1(VALU_DEP_2)
	v_or_b32_e32 v16, 0x1000, v1
	v_sub_nc_u32_e32 v7, 0x3f1, v4
	v_add_nc_u32_e32 v4, 0xfffffc10, v4
	v_cmp_ne_u32_e64 s3, 0, v1
	s_delay_alu instid0(VALU_DEP_3) | instskip(NEXT) | instid1(VALU_DEP_1)
	v_med3_i32 v7, v7, 0, 13
	v_lshrrev_b32_e32 v19, v7, v16
	s_delay_alu instid0(VALU_DEP_1) | instskip(NEXT) | instid1(VALU_DEP_1)
	v_lshlrev_b32_e32 v7, v7, v19
	v_cmp_ne_u32_e64 s1, v7, v16
	v_lshl_or_b32 v16, v4, 12, v1
	v_cndmask_b32_e64 v1, 0, 1, s0
	v_cmp_gt_i32_e64 s0, 1, v9
	s_delay_alu instid0(VALU_DEP_4) | instskip(SKIP_1) | instid1(VALU_DEP_4)
	v_cndmask_b32_e64 v7, 0, 1, s1
	v_cmp_gt_i32_e64 s1, 1, v4
	v_or_b32_e32 v1, v11, v1
	v_lshl_or_b32 v11, v9, 12, v2
	s_delay_alu instid0(VALU_DEP_4) | instskip(NEXT) | instid1(VALU_DEP_2)
	v_or_b32_e32 v7, v19, v7
	v_cndmask_b32_e64 v1, v11, v1, s0
	v_cndmask_b32_e64 v11, 0, 1, s3
	s_delay_alu instid0(VALU_DEP_3) | instskip(NEXT) | instid1(VALU_DEP_2)
	v_cndmask_b32_e64 v7, v16, v7, s1
	v_lshl_or_b32 v11, v11, 9, 0x7c00
	s_delay_alu instid0(VALU_DEP_2) | instskip(SKIP_1) | instid1(VALU_DEP_2)
	v_and_b32_e32 v16, 7, v7
	v_lshrrev_b32_e32 v7, 2, v7
	v_cmp_lt_i32_e64 s1, 5, v16
	v_cmp_eq_u32_e64 s2, 3, v16
	s_delay_alu instid0(VALU_DEP_1) | instskip(SKIP_3) | instid1(VALU_DEP_3)
	s_or_b32 s0, s2, s1
	v_cmp_ne_u32_e64 s2, 0, v2
	v_add_co_ci_u32_e64 v7, s0, 0, v7, s0
	v_cmp_gt_i32_e64 s0, 31, v4
	v_cndmask_b32_e64 v2, 0, 1, s2
	s_delay_alu instid0(VALU_DEP_2) | instskip(SKIP_1) | instid1(VALU_DEP_3)
	v_cndmask_b32_e64 v7, 0x7c00, v7, s0
	v_cmp_eq_u32_e64 s0, 0x40f, v4
	v_lshl_or_b32 v2, v2, 9, 0x7c00
	s_delay_alu instid0(VALU_DEP_2) | instskip(SKIP_3) | instid1(VALU_DEP_3)
	v_cndmask_b32_e64 v4, v7, v11, s0
	v_and_b32_e32 v11, 7, v1
	v_lshrrev_b32_e32 v1, 2, v1
	v_lshrrev_b32_e32 v7, 16, v17
	v_cmp_lt_i32_e64 s0, 5, v11
	v_cmp_eq_u32_e64 s1, 3, v11
	s_delay_alu instid0(VALU_DEP_1) | instskip(SKIP_3) | instid1(VALU_DEP_1)
	s_or_b32 s0, s1, s0
	s_mul_i32 s1, s9, 0xffffbf74
	v_add_co_ci_u32_e64 v1, s0, 0, v1, s0
	v_cmp_gt_i32_e64 s0, 31, v9
	v_cndmask_b32_e64 v1, 0x7c00, v1, s0
	v_cmp_eq_u32_e64 s0, 0x40f, v9
	s_delay_alu instid0(VALU_DEP_1) | instskip(SKIP_3) | instid1(SALU_CYCLE_1)
	v_cndmask_b32_e64 v1, v1, v2, s0
	v_lshrrev_b32_e32 v2, 16, v3
	v_and_or_b32 v3, 0x8000, v7, v4
	s_mul_hi_u32 s0, s8, 0xffffbf74
	s_sub_i32 s9, s0, s8
	s_delay_alu instid0(VALU_DEP_2) | instskip(NEXT) | instid1(VALU_DEP_2)
	v_and_or_b32 v1, 0x8000, v2, v1
	v_and_b32_e32 v2, 0xffff, v3
	s_mulk_i32 s8, 0xbf74
	s_add_i32 s9, s9, s1
	s_delay_alu instid0(VALU_DEP_1) | instskip(SKIP_2) | instid1(VALU_DEP_1)
	v_lshl_or_b32 v1, v1, 16, v2
	global_store_b32 v[14:15], v1, off
	v_add_co_u32 v1, s0, v14, s8
	v_add_co_ci_u32_e64 v2, s0, s9, v15, s0
	ds_load_2addr_b32 v[14:15], v179 offset0:6 offset1:249
	s_waitcnt lgkmcnt(0)
	v_lshrrev_b32_e32 v16, 16, v14
	v_mul_f16_e32 v3, v25, v14
	s_waitcnt vmcnt(0)
	s_delay_alu instid0(VALU_DEP_1) | instskip(NEXT) | instid1(VALU_DEP_1)
	v_fma_f16 v3, v26, v16, -v3
	v_cvt_f32_f16_e32 v3, v3
	s_delay_alu instid0(VALU_DEP_1) | instskip(NEXT) | instid1(VALU_DEP_1)
	v_cvt_f64_f32_e32 v[3:4], v3
	v_mul_f64 v[3:4], v[3:4], s[10:11]
	s_delay_alu instid0(VALU_DEP_1) | instskip(SKIP_3) | instid1(VALU_DEP_4)
	v_and_or_b32 v3, 0x1ff, v4, v3
	v_lshrrev_b32_e32 v7, 8, v4
	v_bfe_u32 v11, v4, 20, 11
	v_lshrrev_b32_e32 v4, 16, v4
	v_cmp_ne_u32_e64 s0, 0, v3
	s_delay_alu instid0(VALU_DEP_1) | instskip(NEXT) | instid1(VALU_DEP_1)
	v_cndmask_b32_e64 v3, 0, 1, s0
	v_and_or_b32 v9, 0xffe, v7, v3
	v_sub_nc_u32_e32 v3, 0x3f1, v11
	s_delay_alu instid0(VALU_DEP_2) | instskip(NEXT) | instid1(VALU_DEP_2)
	v_or_b32_e32 v7, 0x1000, v9
	v_med3_i32 v3, v3, 0, 13
	s_delay_alu instid0(VALU_DEP_1) | instskip(NEXT) | instid1(VALU_DEP_1)
	v_lshrrev_b32_e32 v29, v3, v7
	v_lshlrev_b32_e32 v3, v3, v29
	s_delay_alu instid0(VALU_DEP_1) | instskip(SKIP_1) | instid1(VALU_DEP_1)
	v_cmp_ne_u32_e64 s1, v3, v7
	v_cvt_f32_f16_e32 v3, v8
	v_cvt_f64_f32_e32 v[7:8], v3
	s_delay_alu instid0(VALU_DEP_1) | instskip(NEXT) | instid1(VALU_DEP_1)
	v_mul_f64 v[7:8], v[7:8], s[10:11]
	v_and_or_b32 v3, 0x1ff, v8, v7
	v_lshrrev_b32_e32 v7, 8, v8
	s_delay_alu instid0(VALU_DEP_2) | instskip(NEXT) | instid1(VALU_DEP_1)
	v_cmp_ne_u32_e64 s0, 0, v3
	v_cndmask_b32_e64 v3, 0, 1, s0
	s_delay_alu instid0(VALU_DEP_1) | instskip(SKIP_1) | instid1(VALU_DEP_2)
	v_and_or_b32 v3, 0xffe, v7, v3
	v_bfe_u32 v7, v8, 20, 11
	v_or_b32_e32 v19, 0x1000, v3
	s_delay_alu instid0(VALU_DEP_2) | instskip(SKIP_2) | instid1(VALU_DEP_3)
	v_sub_nc_u32_e32 v17, 0x3f1, v7
	v_add_nc_u32_e32 v7, 0xfffffc10, v7
	v_cmp_ne_u32_e64 s2, 0, v3
	v_med3_i32 v17, v17, 0, 13
	s_delay_alu instid0(VALU_DEP_1) | instskip(NEXT) | instid1(VALU_DEP_1)
	v_lshrrev_b32_e32 v20, v17, v19
	v_lshlrev_b32_e32 v17, v17, v20
	s_delay_alu instid0(VALU_DEP_1) | instskip(SKIP_1) | instid1(VALU_DEP_2)
	v_cmp_ne_u32_e64 s0, v17, v19
	v_lshl_or_b32 v19, v7, 12, v3
	v_cndmask_b32_e64 v17, 0, 1, s0
	v_cmp_gt_i32_e64 s0, 1, v7
	s_delay_alu instid0(VALU_DEP_2) | instskip(NEXT) | instid1(VALU_DEP_1)
	v_or_b32_e32 v17, v20, v17
	v_cndmask_b32_e64 v17, v19, v17, s0
	v_cndmask_b32_e64 v19, 0, 1, vcc_lo
	v_cmp_gt_i32_e32 vcc_lo, 1, v12
	s_delay_alu instid0(VALU_DEP_2) | instskip(SKIP_2) | instid1(VALU_DEP_2)
	v_or_b32_e32 v13, v13, v19
	v_lshl_or_b32 v19, v12, 12, v10
	v_cndmask_b32_e64 v10, 0, 1, s2
	v_cndmask_b32_e32 v13, v19, v13, vcc_lo
	v_and_b32_e32 v19, 7, v17
	s_delay_alu instid0(VALU_DEP_3) | instskip(NEXT) | instid1(VALU_DEP_3)
	v_lshl_or_b32 v10, v10, 9, 0x7c00
	v_and_b32_e32 v3, 7, v13
	s_delay_alu instid0(VALU_DEP_3) | instskip(SKIP_1) | instid1(VALU_DEP_3)
	v_cmp_lt_i32_e32 vcc_lo, 5, v19
	v_cmp_eq_u32_e64 s0, 3, v19
	v_cmp_lt_i32_e64 s3, 5, v3
	v_cmp_eq_u32_e64 s4, 3, v3
	v_lshrrev_b32_e32 v3, 2, v17
	s_delay_alu instid0(VALU_DEP_4) | instskip(NEXT) | instid1(VALU_DEP_1)
	s_or_b32 vcc_lo, s0, vcc_lo
	v_add_co_ci_u32_e32 v3, vcc_lo, 0, v3, vcc_lo
	v_cmp_gt_i32_e32 vcc_lo, 31, v7
	s_delay_alu instid0(VALU_DEP_2) | instskip(SKIP_3) | instid1(VALU_DEP_4)
	v_cndmask_b32_e32 v3, 0x7c00, v3, vcc_lo
	v_cmp_eq_u32_e32 vcc_lo, 0x40f, v7
	v_lshrrev_b32_e32 v7, 16, v8
	v_lshrrev_b32_e32 v8, 2, v13
	v_cndmask_b32_e32 v3, v3, v10, vcc_lo
	s_or_b32 vcc_lo, s4, s3
	v_cndmask_b32_e64 v10, 0, 1, s5
	s_delay_alu instid0(VALU_DEP_3) | instskip(SKIP_2) | instid1(VALU_DEP_4)
	v_add_co_ci_u32_e32 v8, vcc_lo, 0, v8, vcc_lo
	v_cmp_gt_i32_e32 vcc_lo, 31, v12
	v_and_or_b32 v3, 0x8000, v7, v3
	v_lshl_or_b32 v10, v10, 9, 0x7c00
	v_lshrrev_b32_e32 v7, 16, v15
	v_cndmask_b32_e32 v8, 0x7c00, v8, vcc_lo
	v_cmp_eq_u32_e32 vcc_lo, 0x40f, v12
	s_delay_alu instid0(VALU_DEP_2) | instskip(SKIP_2) | instid1(VALU_DEP_3)
	v_dual_cndmask_b32 v8, v8, v10 :: v_dual_and_b32 v3, 0xffff, v3
	v_add_co_u32 v21, vcc_lo, v1, s12
	v_add_co_ci_u32_e32 v22, vcc_lo, s7, v2, vcc_lo
	v_and_or_b32 v5, 0x8000, v5, v8
	s_delay_alu instid0(VALU_DEP_1)
	v_lshl_or_b32 v3, v5, 16, v3
	v_mul_f16_e32 v5, v25, v16
	global_store_b32 v[1:2], v3, off
	v_cvt_f32_f16_e32 v1, v18
	scratch_load_b32 v3, off, off offset:152 ; 4-byte Folded Reload
	v_fmac_f16_e32 v5, v26, v14
	s_clause 0x1
	scratch_load_b32 v14, off, off offset:156
	scratch_load_b32 v18, off, off offset:164
	v_cvt_f64_f32_e32 v[1:2], v1
	ds_load_2addr_b32 v[25:26], v176 offset0:6 offset1:249
	v_mul_f64 v[23:24], v[1:2], s[10:11]
	s_delay_alu instid0(VALU_DEP_1) | instskip(SKIP_2) | instid1(VALU_DEP_3)
	v_and_or_b32 v1, 0x1ff, v24, v23
	v_lshrrev_b32_e32 v2, 8, v24
	v_bfe_u32 v23, v24, 20, 11
	v_cmp_ne_u32_e32 vcc_lo, 0, v1
	v_cndmask_b32_e64 v1, 0, 1, vcc_lo
	s_delay_alu instid0(VALU_DEP_1) | instskip(NEXT) | instid1(VALU_DEP_4)
	v_and_or_b32 v12, 0xffe, v2, v1
	v_sub_nc_u32_e32 v1, 0x3f1, v23
	s_delay_alu instid0(VALU_DEP_2) | instskip(NEXT) | instid1(VALU_DEP_2)
	v_or_b32_e32 v2, 0x1000, v12
	v_med3_i32 v1, v1, 0, 13
	s_delay_alu instid0(VALU_DEP_1) | instskip(NEXT) | instid1(VALU_DEP_1)
	v_lshrrev_b32_e32 v30, v1, v2
	v_lshlrev_b32_e32 v1, v1, v30
	s_delay_alu instid0(VALU_DEP_1)
	v_cmp_ne_u32_e64 s3, v1, v2
	scratch_load_b32 v1, off, off offset:160 ; 4-byte Folded Reload
	s_waitcnt vmcnt(3) lgkmcnt(0)
	v_mul_f16_e32 v2, v3, v25
	s_waitcnt vmcnt(0)
	v_mul_f16_e32 v10, v1, v7
	v_mul_f16_e32 v8, v1, v15
	v_lshrrev_b32_e32 v1, 16, v25
	s_delay_alu instid0(VALU_DEP_3) | instskip(NEXT) | instid1(VALU_DEP_2)
	v_fmac_f16_e32 v10, v18, v15
	v_mul_f16_e32 v3, v3, v1
	v_fma_f16 v13, v14, v1, -v2
	s_delay_alu instid0(VALU_DEP_2) | instskip(SKIP_1) | instid1(VALU_DEP_2)
	v_fmac_f16_e32 v3, v14, v25
	v_fma_f16 v25, v18, v7, -v8
	v_cvt_f32_f16_e32 v1, v3
	s_delay_alu instid0(VALU_DEP_1) | instskip(NEXT) | instid1(VALU_DEP_1)
	v_cvt_f64_f32_e32 v[1:2], v1
	v_mul_f64 v[2:3], v[1:2], s[10:11]
	s_delay_alu instid0(VALU_DEP_1) | instskip(SKIP_3) | instid1(VALU_DEP_4)
	v_and_or_b32 v1, 0x1ff, v3, v2
	v_lshrrev_b32_e32 v2, 8, v3
	v_bfe_u32 v17, v3, 20, 11
	v_lshrrev_b32_e32 v3, 16, v3
	v_cmp_ne_u32_e32 vcc_lo, 0, v1
	v_cndmask_b32_e64 v1, 0, 1, vcc_lo
	s_delay_alu instid0(VALU_DEP_1) | instskip(SKIP_1) | instid1(VALU_DEP_2)
	v_and_or_b32 v16, 0xffe, v2, v1
	v_sub_nc_u32_e32 v1, 0x3f1, v17
	v_or_b32_e32 v2, 0x1000, v16
	s_delay_alu instid0(VALU_DEP_2) | instskip(NEXT) | instid1(VALU_DEP_1)
	v_med3_i32 v1, v1, 0, 13
	v_lshrrev_b32_e32 v19, v1, v2
	s_delay_alu instid0(VALU_DEP_1) | instskip(NEXT) | instid1(VALU_DEP_1)
	v_lshlrev_b32_e32 v1, v1, v19
	v_cmp_ne_u32_e64 s0, v1, v2
	v_cvt_f32_f16_e32 v1, v13
	s_delay_alu instid0(VALU_DEP_1) | instskip(NEXT) | instid1(VALU_DEP_1)
	v_cvt_f64_f32_e32 v[1:2], v1
	v_mul_f64 v[7:8], v[1:2], s[10:11]
	s_delay_alu instid0(VALU_DEP_1) | instskip(SKIP_3) | instid1(VALU_DEP_4)
	v_and_or_b32 v1, 0x1ff, v8, v7
	v_lshrrev_b32_e32 v2, 8, v8
	v_bfe_u32 v20, v8, 20, 11
	v_lshrrev_b32_e32 v8, 16, v8
	v_cmp_ne_u32_e32 vcc_lo, 0, v1
	v_cndmask_b32_e64 v1, 0, 1, vcc_lo
	s_delay_alu instid0(VALU_DEP_1) | instskip(SKIP_1) | instid1(VALU_DEP_2)
	v_and_or_b32 v18, 0xffe, v2, v1
	v_sub_nc_u32_e32 v1, 0x3f1, v20
	v_or_b32_e32 v2, 0x1000, v18
	s_delay_alu instid0(VALU_DEP_2) | instskip(NEXT) | instid1(VALU_DEP_1)
	v_med3_i32 v1, v1, 0, 13
	v_lshrrev_b32_e32 v31, v1, v2
	s_delay_alu instid0(VALU_DEP_1) | instskip(NEXT) | instid1(VALU_DEP_1)
	v_lshlrev_b32_e32 v1, v1, v31
	v_cmp_ne_u32_e64 s2, v1, v2
	v_cvt_f32_f16_e32 v1, v10
	s_delay_alu instid0(VALU_DEP_1) | instskip(NEXT) | instid1(VALU_DEP_1)
	v_cvt_f64_f32_e32 v[1:2], v1
	v_mul_f64 v[1:2], v[1:2], s[10:11]
	s_delay_alu instid0(VALU_DEP_1) | instskip(SKIP_3) | instid1(VALU_DEP_4)
	v_and_or_b32 v1, 0x1ff, v2, v1
	v_lshrrev_b32_e32 v7, 8, v2
	v_bfe_u32 v14, v2, 20, 11
	v_lshrrev_b32_e32 v2, 16, v2
	v_cmp_ne_u32_e32 vcc_lo, 0, v1
	v_cndmask_b32_e64 v1, 0, 1, vcc_lo
	s_delay_alu instid0(VALU_DEP_1) | instskip(SKIP_2) | instid1(VALU_DEP_3)
	v_and_or_b32 v13, 0xffe, v7, v1
	v_sub_nc_u32_e32 v1, 0x3f1, v14
	v_add_nc_u32_e32 v14, 0xfffffc10, v14
	v_or_b32_e32 v7, 0x1000, v13
	s_delay_alu instid0(VALU_DEP_3) | instskip(NEXT) | instid1(VALU_DEP_1)
	v_med3_i32 v1, v1, 0, 13
	v_lshrrev_b32_e32 v15, v1, v7
	s_delay_alu instid0(VALU_DEP_1) | instskip(NEXT) | instid1(VALU_DEP_1)
	v_lshlrev_b32_e32 v1, v1, v15
	v_cmp_ne_u32_e32 vcc_lo, v1, v7
	v_cvt_f32_f16_e32 v1, v5
	s_delay_alu instid0(VALU_DEP_1) | instskip(NEXT) | instid1(VALU_DEP_1)
	v_cvt_f64_f32_e32 v[27:28], v1
	v_mul_f64 v[27:28], v[27:28], s[10:11]
	s_delay_alu instid0(VALU_DEP_1) | instskip(SKIP_1) | instid1(VALU_DEP_2)
	v_and_or_b32 v1, 0x1ff, v28, v27
	v_lshrrev_b32_e32 v5, 8, v28
	v_cmp_ne_u32_e64 s4, 0, v1
	s_delay_alu instid0(VALU_DEP_1) | instskip(NEXT) | instid1(VALU_DEP_1)
	v_cndmask_b32_e64 v1, 0, 1, s4
	v_and_or_b32 v1, 0xffe, v5, v1
	v_bfe_u32 v5, v28, 20, 11
	s_delay_alu instid0(VALU_DEP_2) | instskip(NEXT) | instid1(VALU_DEP_2)
	v_or_b32_e32 v10, 0x1000, v1
	v_sub_nc_u32_e32 v7, 0x3f1, v5
	v_add_nc_u32_e32 v5, 0xfffffc10, v5
	s_delay_alu instid0(VALU_DEP_2) | instskip(NEXT) | instid1(VALU_DEP_1)
	v_med3_i32 v7, v7, 0, 13
	v_lshrrev_b32_e32 v27, v7, v10
	s_delay_alu instid0(VALU_DEP_1) | instskip(NEXT) | instid1(VALU_DEP_1)
	v_lshlrev_b32_e32 v7, v7, v27
	v_cmp_ne_u32_e64 s4, v7, v10
	v_lshl_or_b32 v10, v5, 12, v1
	s_delay_alu instid0(VALU_DEP_2) | instskip(SKIP_1) | instid1(VALU_DEP_2)
	v_cndmask_b32_e64 v7, 0, 1, s4
	v_cmp_gt_i32_e64 s4, 1, v5
	v_or_b32_e32 v7, v27, v7
	s_delay_alu instid0(VALU_DEP_1) | instskip(NEXT) | instid1(VALU_DEP_1)
	v_cndmask_b32_e64 v7, v10, v7, s4
	v_and_b32_e32 v10, 7, v7
	v_lshrrev_b32_e32 v7, 2, v7
	s_delay_alu instid0(VALU_DEP_2) | instskip(SKIP_4) | instid1(VALU_DEP_4)
	v_cmp_lt_i32_e64 s4, 5, v10
	v_cmp_eq_u32_e64 s5, 3, v10
	v_cndmask_b32_e64 v10, 0, 1, s1
	v_cmp_ne_u32_e64 s1, 0, v1
	v_add_nc_u32_e32 v1, 0xfffffc10, v11
	s_or_b32 s4, s5, s4
	s_delay_alu instid0(VALU_DEP_3) | instskip(SKIP_1) | instid1(VALU_DEP_3)
	v_or_b32_e32 v10, v29, v10
	v_add_co_ci_u32_e64 v7, s4, 0, v7, s4
	v_lshl_or_b32 v11, v1, 12, v9
	v_cmp_gt_i32_e64 s6, 1, v1
	v_cmp_gt_i32_e64 s4, 31, v5
	v_cmp_ne_u32_e64 s5, 0, v9
	scratch_load_b32 v29, off, off offset:120 ; 4-byte Folded Reload
	v_cndmask_b32_e64 v10, v11, v10, s6
	v_cndmask_b32_e64 v11, 0, 1, s1
	;; [unrolled: 1-line block ×3, first 2 shown]
	v_cmp_eq_u32_e64 s1, 0x40f, v5
	s_delay_alu instid0(VALU_DEP_4) | instskip(NEXT) | instid1(VALU_DEP_4)
	v_lshrrev_b32_e32 v9, 2, v10
	v_lshl_or_b32 v11, v11, 9, 0x7c00
	s_delay_alu instid0(VALU_DEP_1) | instskip(SKIP_2) | instid1(VALU_DEP_2)
	v_cndmask_b32_e64 v5, v7, v11, s1
	v_and_b32_e32 v7, 7, v10
	v_cndmask_b32_e64 v10, 0, 1, s5
	v_cmp_lt_i32_e64 s1, 5, v7
	v_cmp_eq_u32_e64 s4, 3, v7
	v_lshrrev_b32_e32 v7, 16, v28
	s_delay_alu instid0(VALU_DEP_4) | instskip(NEXT) | instid1(VALU_DEP_3)
	v_lshl_or_b32 v10, v10, 9, 0x7c00
	s_or_b32 s1, s4, s1
	s_delay_alu instid0(VALU_DEP_2) | instskip(SKIP_2) | instid1(VALU_DEP_1)
	v_and_or_b32 v5, 0x8000, v7, v5
	v_add_co_ci_u32_e64 v9, s1, 0, v9, s1
	v_cmp_gt_i32_e64 s1, 31, v1
	v_cndmask_b32_e64 v9, 0x7c00, v9, s1
	v_cmp_eq_u32_e64 s1, 0x40f, v1
	s_delay_alu instid0(VALU_DEP_1) | instskip(NEXT) | instid1(VALU_DEP_1)
	v_cndmask_b32_e64 v1, v9, v10, s1
	v_and_or_b32 v1, 0x8000, v4, v1
	v_and_b32_e32 v4, 0xffff, v5
	s_delay_alu instid0(VALU_DEP_1) | instskip(SKIP_1) | instid1(VALU_DEP_1)
	v_lshl_or_b32 v1, v1, 16, v4
	v_add_co_u32 v4, s1, v21, s12
	v_add_co_ci_u32_e64 v5, s1, s7, v22, s1
	global_store_b32 v[21:22], v1, off
	v_cvt_f32_f16_e32 v1, v25
	s_delay_alu instid0(VALU_DEP_1) | instskip(NEXT) | instid1(VALU_DEP_1)
	v_cvt_f64_f32_e32 v[9:10], v1
	v_mul_f64 v[9:10], v[9:10], s[10:11]
	s_delay_alu instid0(VALU_DEP_1) | instskip(SKIP_3) | instid1(VALU_DEP_4)
	v_and_or_b32 v1, 0x1ff, v10, v9
	v_lshrrev_b32_e32 v7, 8, v10
	v_bfe_u32 v21, v10, 20, 11
	v_lshrrev_b32_e32 v10, 16, v10
	v_cmp_ne_u32_e64 s1, 0, v1
	s_delay_alu instid0(VALU_DEP_1) | instskip(NEXT) | instid1(VALU_DEP_1)
	v_cndmask_b32_e64 v1, 0, 1, s1
	v_and_or_b32 v9, 0xffe, v7, v1
	v_sub_nc_u32_e32 v1, 0x3f1, v21
	s_delay_alu instid0(VALU_DEP_2) | instskip(NEXT) | instid1(VALU_DEP_2)
	v_or_b32_e32 v7, 0x1000, v9
	v_med3_i32 v1, v1, 0, 13
	s_delay_alu instid0(VALU_DEP_1) | instskip(NEXT) | instid1(VALU_DEP_1)
	v_lshrrev_b32_e32 v22, v1, v7
	v_lshlrev_b32_e32 v1, v1, v22
	s_delay_alu instid0(VALU_DEP_1) | instskip(SKIP_1) | instid1(VALU_DEP_1)
	v_cmp_ne_u32_e64 s1, v1, v7
	v_cvt_f32_f16_e32 v1, v6
	v_cvt_f64_f32_e32 v[6:7], v1
	s_delay_alu instid0(VALU_DEP_1) | instskip(NEXT) | instid1(VALU_DEP_1)
	v_mul_f64 v[6:7], v[6:7], s[10:11]
	v_and_or_b32 v1, 0x1ff, v7, v6
	v_lshrrev_b32_e32 v6, 8, v7
	s_delay_alu instid0(VALU_DEP_2) | instskip(NEXT) | instid1(VALU_DEP_1)
	v_cmp_ne_u32_e64 s4, 0, v1
	v_cndmask_b32_e64 v1, 0, 1, s4
	s_delay_alu instid0(VALU_DEP_1) | instskip(SKIP_2) | instid1(VALU_DEP_3)
	v_and_or_b32 v1, 0xffe, v6, v1
	v_bfe_u32 v6, v7, 20, 11
	v_lshrrev_b32_e32 v7, 16, v7
	v_or_b32_e32 v25, 0x1000, v1
	s_delay_alu instid0(VALU_DEP_3) | instskip(SKIP_1) | instid1(VALU_DEP_2)
	v_sub_nc_u32_e32 v11, 0x3f1, v6
	v_add_nc_u32_e32 v6, 0xfffffc10, v6
	v_med3_i32 v11, v11, 0, 13
	s_delay_alu instid0(VALU_DEP_1) | instskip(NEXT) | instid1(VALU_DEP_1)
	v_lshrrev_b32_e32 v27, v11, v25
	v_lshlrev_b32_e32 v11, v11, v27
	s_delay_alu instid0(VALU_DEP_1) | instskip(SKIP_1) | instid1(VALU_DEP_2)
	v_cmp_ne_u32_e64 s4, v11, v25
	v_lshl_or_b32 v25, v6, 12, v1
	v_cndmask_b32_e64 v11, 0, 1, s4
	v_cmp_gt_i32_e64 s4, 1, v6
	s_delay_alu instid0(VALU_DEP_2) | instskip(SKIP_2) | instid1(VALU_DEP_1)
	v_or_b32_e32 v11, v27, v11
	scratch_load_b32 v27, off, off offset:124 ; 4-byte Folded Reload
	v_cndmask_b32_e64 v11, v25, v11, s4
	v_and_b32_e32 v25, 7, v11
	v_lshrrev_b32_e32 v11, 2, v11
	s_delay_alu instid0(VALU_DEP_2) | instskip(SKIP_4) | instid1(VALU_DEP_4)
	v_cmp_lt_i32_e64 s4, 5, v25
	v_cmp_eq_u32_e64 s5, 3, v25
	v_cndmask_b32_e64 v25, 0, 1, s3
	v_cmp_ne_u32_e64 s3, 0, v1
	v_add_nc_u32_e32 v1, 0xfffffc10, v23
	s_or_b32 s4, s5, s4
	s_delay_alu instid0(VALU_DEP_3) | instskip(SKIP_1) | instid1(VALU_DEP_3)
	v_or_b32_e32 v25, v30, v25
	v_add_co_ci_u32_e64 v11, s4, 0, v11, s4
	v_lshl_or_b32 v23, v1, 12, v12
	v_cmp_gt_i32_e64 s6, 1, v1
	v_cmp_gt_i32_e64 s4, 31, v6
	v_cmp_ne_u32_e64 s5, 0, v12
	s_delay_alu instid0(VALU_DEP_3) | instskip(SKIP_1) | instid1(VALU_DEP_4)
	v_cndmask_b32_e64 v23, v23, v25, s6
	v_cndmask_b32_e64 v25, 0, 1, s3
	;; [unrolled: 1-line block ×3, first 2 shown]
	v_cmp_eq_u32_e64 s3, 0x40f, v6
	v_cndmask_b32_e64 v12, 0, 1, s5
	s_delay_alu instid0(VALU_DEP_4) | instskip(NEXT) | instid1(VALU_DEP_2)
	v_lshl_or_b32 v25, v25, 9, 0x7c00
	v_lshl_or_b32 v12, v12, 9, 0x7c00
	s_delay_alu instid0(VALU_DEP_2) | instskip(SKIP_1) | instid1(VALU_DEP_2)
	v_cndmask_b32_e64 v6, v11, v25, s3
	v_and_b32_e32 v11, 7, v23
	v_and_or_b32 v6, 0x8000, v7, v6
	s_delay_alu instid0(VALU_DEP_2)
	v_cmp_lt_i32_e64 s3, 5, v11
	v_cmp_eq_u32_e64 s4, 3, v11
	v_lshrrev_b32_e32 v11, 2, v23
	scratch_load_b32 v7, off, off offset:136 ; 4-byte Folded Reload
	v_and_b32_e32 v6, 0xffff, v6
	s_or_b32 s3, s4, s3
	s_delay_alu instid0(SALU_CYCLE_1) | instskip(SKIP_1) | instid1(VALU_DEP_1)
	v_add_co_ci_u32_e64 v11, s3, 0, v11, s3
	v_cmp_gt_i32_e64 s3, 31, v1
	v_cndmask_b32_e64 v11, 0x7c00, v11, s3
	v_cmp_eq_u32_e64 s3, 0x40f, v1
	s_delay_alu instid0(VALU_DEP_1) | instskip(SKIP_1) | instid1(VALU_DEP_1)
	v_cndmask_b32_e64 v1, v11, v12, s3
	v_lshrrev_b32_e32 v11, 16, v24
	v_and_or_b32 v1, 0x8000, v11, v1
	v_add_co_u32 v11, s3, v4, s8
	s_delay_alu instid0(VALU_DEP_1) | instskip(NEXT) | instid1(VALU_DEP_3)
	v_add_co_ci_u32_e64 v12, s3, s9, v5, s3
	v_lshl_or_b32 v1, v1, 16, v6
	global_store_b32 v[4:5], v1, off
	s_clause 0x1
	scratch_load_b32 v4, off, off offset:148
	scratch_load_b32 v5, off, off offset:144
	v_lshrrev_b32_e32 v1, 16, v26
	s_waitcnt vmcnt(1)
	s_delay_alu instid0(VALU_DEP_1) | instskip(SKIP_2) | instid1(VALU_DEP_2)
	v_mul_f16_e32 v23, v4, v1
	v_mul_f16_e32 v4, v4, v26
	s_waitcnt vmcnt(0)
	v_fmac_f16_e32 v23, v5, v26
	scratch_load_b32 v26, off, off offset:140 ; 4-byte Folded Reload
	v_fma_f16 v24, v5, v1, -v4
	ds_load_2addr_b32 v[4:5], v181 offset0:12 offset1:255
	s_waitcnt lgkmcnt(0)
	v_lshrrev_b32_e32 v1, 16, v4
	v_mul_f16_e32 v6, v7, v4
	s_delay_alu instid0(VALU_DEP_2) | instskip(SKIP_1) | instid1(VALU_DEP_1)
	v_mul_f16_e32 v7, v7, v1
	s_waitcnt vmcnt(0)
	v_fmac_f16_e32 v7, v26, v4
	s_delay_alu instid0(VALU_DEP_3) | instskip(NEXT) | instid1(VALU_DEP_2)
	v_fma_f16 v25, v26, v1, -v6
	v_cvt_f32_f16_e32 v1, v7
	s_delay_alu instid0(VALU_DEP_1) | instskip(NEXT) | instid1(VALU_DEP_1)
	v_cvt_f64_f32_e32 v[6:7], v1
	v_mul_f64 v[6:7], v[6:7], s[10:11]
	s_delay_alu instid0(VALU_DEP_1) | instskip(SKIP_2) | instid1(VALU_DEP_3)
	v_and_or_b32 v1, 0x1ff, v7, v6
	v_lshrrev_b32_e32 v4, 8, v7
	v_add_nc_u32_e32 v6, 0xfffffc10, v17
	v_cmp_ne_u32_e64 s3, 0, v1
	s_delay_alu instid0(VALU_DEP_2) | instskip(NEXT) | instid1(VALU_DEP_2)
	v_lshl_or_b32 v17, v6, 12, v16
	v_cndmask_b32_e64 v1, 0, 1, s3
	v_cmp_ne_u32_e64 s3, 0, v16
	s_delay_alu instid0(VALU_DEP_2) | instskip(SKIP_2) | instid1(VALU_DEP_2)
	v_and_or_b32 v1, 0xffe, v4, v1
	v_cndmask_b32_e64 v4, 0, 1, s0
	v_cmp_gt_i32_e64 s0, 1, v6
	v_or_b32_e32 v4, v19, v4
	v_add_nc_u32_e32 v19, 0xfffffc10, v20
	s_delay_alu instid0(VALU_DEP_2) | instskip(SKIP_1) | instid1(VALU_DEP_3)
	v_cndmask_b32_e64 v4, v17, v4, s0
	v_cndmask_b32_e64 v17, 0, 1, s2
	v_lshl_or_b32 v20, v19, 12, v18
	v_cmp_gt_i32_e64 s0, 1, v19
	s_delay_alu instid0(VALU_DEP_3) | instskip(SKIP_4) | instid1(VALU_DEP_3)
	v_or_b32_e32 v17, v31, v17
	scratch_load_b32 v31, off, off offset:104 ; 4-byte Folded Reload
	v_cndmask_b32_e64 v17, v20, v17, s0
	v_and_b32_e32 v20, 7, v4
	v_lshrrev_b32_e32 v4, 2, v4
	v_and_b32_e32 v16, 7, v17
	s_delay_alu instid0(VALU_DEP_3) | instskip(SKIP_1) | instid1(VALU_DEP_3)
	v_cmp_lt_i32_e64 s0, 5, v20
	v_cmp_eq_u32_e64 s2, 3, v20
	v_cmp_lt_i32_e64 s4, 5, v16
	v_cmp_eq_u32_e64 s5, 3, v16
	s_delay_alu instid0(VALU_DEP_3) | instskip(SKIP_4) | instid1(VALU_DEP_3)
	s_or_b32 s0, s2, s0
	v_cndmask_b32_e64 v16, 0, 1, s3
	v_add_co_ci_u32_e64 v4, s0, 0, v4, s0
	v_cmp_gt_i32_e64 s0, 31, v6
	s_or_b32 s2, s5, s4
	v_lshl_or_b32 v16, v16, 9, 0x7c00
	s_delay_alu instid0(VALU_DEP_2) | instskip(SKIP_2) | instid1(VALU_DEP_2)
	v_cndmask_b32_e64 v4, 0x7c00, v4, s0
	v_cmp_eq_u32_e64 s0, 0x40f, v6
	v_lshrrev_b32_e32 v6, 2, v17
	v_cndmask_b32_e64 v4, v4, v16, s0
	v_cmp_ne_u32_e64 s0, 0, v18
	v_add_nc_u32_e32 v18, 0xfffffc10, v21
	s_delay_alu instid0(VALU_DEP_4) | instskip(NEXT) | instid1(VALU_DEP_4)
	v_add_co_ci_u32_e64 v6, s2, 0, v6, s2
	v_and_or_b32 v17, 0x8000, v3, v4
	v_cndmask_b32_e64 v3, 0, 1, vcc_lo
	v_lshl_or_b32 v4, v14, 12, v13
	v_cmp_gt_i32_e32 vcc_lo, 1, v14
	v_cmp_gt_i32_e64 s2, 31, v19
	v_cndmask_b32_e64 v16, 0, 1, s0
	v_or_b32_e32 v3, v15, v3
	v_cmp_eq_u32_e64 s0, 0x40f, v19
	v_and_b32_e32 v17, 0xffff, v17
	v_cndmask_b32_e64 v6, 0x7c00, v6, s2
	v_lshl_or_b32 v16, v16, 9, 0x7c00
	v_cndmask_b32_e32 v15, v4, v3, vcc_lo
	v_cndmask_b32_e64 v3, 0, 1, s1
	v_lshl_or_b32 v4, v18, 12, v9
	v_cmp_gt_i32_e32 vcc_lo, 1, v18
	v_cndmask_b32_e64 v6, v6, v16, s0
	v_cvt_f32_f16_e32 v16, v23
	v_or_b32_e32 v3, v22, v3
	s_delay_alu instid0(VALU_DEP_3) | instskip(NEXT) | instid1(VALU_DEP_2)
	v_and_or_b32 v6, 0x8000, v8, v6
	v_cndmask_b32_e32 v19, v4, v3, vcc_lo
	v_and_b32_e32 v3, 7, v15
	v_cvt_f32_f16_e32 v4, v25
	v_lshrrev_b32_e32 v15, 2, v15
	v_lshl_or_b32 v6, v6, 16, v17
	scratch_load_b32 v25, off, off offset:132 ; 4-byte Folded Reload
	v_cmp_lt_i32_e32 vcc_lo, 5, v3
	v_cmp_eq_u32_e64 s0, 3, v3
	v_and_b32_e32 v3, 7, v19
	v_lshrrev_b32_e32 v19, 2, v19
	global_store_b32 v[11:12], v6, off
	v_cvt_f32_f16_e32 v17, v24
	s_or_b32 vcc_lo, s0, vcc_lo
	v_cmp_lt_i32_e64 s1, 5, v3
	v_cmp_eq_u32_e64 s2, 3, v3
	v_cvt_f64_f32_e32 v[3:4], v4
	v_add_co_ci_u32_e32 v15, vcc_lo, 0, v15, vcc_lo
	v_cmp_ne_u32_e32 vcc_lo, 0, v13
	v_cndmask_b32_e64 v13, 0, 1, vcc_lo
	v_cmp_gt_i32_e32 vcc_lo, 31, v14
	s_delay_alu instid0(VALU_DEP_2) | instskip(SKIP_3) | instid1(VALU_DEP_3)
	v_lshl_or_b32 v21, v13, 9, 0x7c00
	v_cndmask_b32_e32 v20, 0x7c00, v15, vcc_lo
	v_cmp_eq_u32_e32 vcc_lo, 0x40f, v14
	v_cvt_f64_f32_e32 v[13:14], v16
	v_cndmask_b32_e32 v20, v20, v21, vcc_lo
	s_or_b32 vcc_lo, s2, s1
	v_bfe_u32 v21, v7, 20, 11
	v_lshrrev_b32_e32 v7, 16, v7
	s_delay_alu instid0(VALU_DEP_3) | instskip(NEXT) | instid1(VALU_DEP_1)
	v_and_or_b32 v2, 0x8000, v2, v20
	v_and_b32_e32 v2, 0xffff, v2
	v_mul_f64 v[15:16], v[3:4], s[10:11]
	v_mul_f64 v[3:4], v[13:14], s[10:11]
	v_add_co_ci_u32_e32 v13, vcc_lo, 0, v19, vcc_lo
	v_cmp_ne_u32_e32 vcc_lo, 0, v9
	v_sub_nc_u32_e32 v14, 0x3f1, v21
	v_add_nc_u32_e32 v21, 0xfffffc10, v21
	v_cndmask_b32_e64 v9, 0, 1, vcc_lo
	v_cmp_gt_i32_e32 vcc_lo, 31, v18
	s_delay_alu instid0(VALU_DEP_4) | instskip(NEXT) | instid1(VALU_DEP_3)
	v_med3_i32 v14, v14, 0, 13
	v_lshl_or_b32 v9, v9, 9, 0x7c00
	v_cndmask_b32_e32 v13, 0x7c00, v13, vcc_lo
	v_cmp_eq_u32_e32 vcc_lo, 0x40f, v18
	v_or_b32_e32 v18, 0x1000, v1
	s_delay_alu instid0(VALU_DEP_3) | instskip(SKIP_2) | instid1(VALU_DEP_4)
	v_cndmask_b32_e32 v9, v13, v9, vcc_lo
	v_and_or_b32 v13, 0x1ff, v16, v15
	v_lshrrev_b32_e32 v19, 8, v16
	v_lshrrev_b32_e32 v15, v14, v18
	s_delay_alu instid0(VALU_DEP_4) | instskip(SKIP_2) | instid1(VALU_DEP_4)
	v_and_or_b32 v9, 0x8000, v10, v9
	v_bfe_u32 v8, v16, 20, 11
	v_cmp_ne_u32_e32 vcc_lo, 0, v13
	v_lshlrev_b32_e32 v20, v14, v15
	s_delay_alu instid0(VALU_DEP_4) | instskip(SKIP_4) | instid1(VALU_DEP_3)
	v_lshl_or_b32 v2, v9, 16, v2
	ds_load_2addr_b32 v[9:10], v163 offset0:4 offset1:247
	v_cndmask_b32_e64 v13, 0, 1, vcc_lo
	v_sub_nc_u32_e32 v22, 0x3f1, v8
	v_add_nc_u32_e32 v24, 0xfffffc10, v8
	v_and_or_b32 v19, 0xffe, v19, v13
	v_add_co_u32 v13, vcc_lo, v11, s12
	v_add_co_ci_u32_e32 v14, vcc_lo, s7, v12, vcc_lo
	v_and_or_b32 v6, 0x1ff, v4, v3
	v_med3_i32 v22, v22, 0, 13
	v_or_b32_e32 v11, 0x1000, v19
	global_store_b32 v[13:14], v2, off
	v_add_co_u32 v13, vcc_lo, v13, s12
	v_add_co_ci_u32_e32 v14, vcc_lo, s7, v14, vcc_lo
	v_cmp_ne_u32_e32 vcc_lo, 0, v6
	v_cvt_f64_f32_e32 v[2:3], v17
	v_lshrrev_b32_e32 v12, 8, v4
	s_waitcnt lgkmcnt(0)
	v_lshrrev_b32_e32 v17, 16, v9
	v_cndmask_b32_e64 v6, 0, 1, vcc_lo
	v_cmp_ne_u32_e32 vcc_lo, v20, v18
	scratch_load_b32 v20, off, off offset:128 ; 4-byte Folded Reload
	v_and_or_b32 v6, 0xffe, v12, v6
	v_lshrrev_b32_e32 v12, v22, v11
	s_waitcnt vmcnt(0)
	v_mul_f16_e32 v18, v20, v9
	v_mul_f16_e32 v20, v20, v17
	s_delay_alu instid0(VALU_DEP_2)
	v_fma_f16 v23, v25, v17, -v18
	v_lshlrev_b32_e32 v18, v22, v12
	v_cndmask_b32_e64 v17, 0, 1, vcc_lo
	v_lshrrev_b32_e32 v22, 16, v5
	v_fmac_f16_e32 v20, v25, v9
	v_lshl_or_b32 v9, v24, 12, v19
	v_cmp_ne_u32_e32 vcc_lo, v18, v11
	v_or_b32_e32 v15, v15, v17
	v_lshl_or_b32 v11, v21, 12, v1
	v_cndmask_b32_e64 v17, 0, 1, vcc_lo
	v_cmp_gt_i32_e32 vcc_lo, 1, v21
	s_delay_alu instid0(VALU_DEP_2) | instskip(NEXT) | instid1(VALU_DEP_4)
	v_or_b32_e32 v8, v12, v17
	v_cndmask_b32_e32 v11, v11, v15, vcc_lo
	v_mul_f16_e32 v15, v27, v22
	v_cmp_gt_i32_e32 vcc_lo, 1, v24
	v_cvt_f32_f16_e32 v12, v20
	v_mul_f64 v[17:18], v[2:3], s[10:11]
	v_and_b32_e32 v20, 7, v11
	v_fmac_f16_e32 v15, v29, v5
	v_cndmask_b32_e32 v25, v9, v8, vcc_lo
	v_cvt_f64_f32_e32 v[8:9], v12
	v_lshrrev_b32_e32 v11, 2, v11
	v_cmp_lt_i32_e32 vcc_lo, 5, v20
	v_cvt_f32_f16_e32 v3, v15
	v_and_b32_e32 v2, 7, v25
	v_cmp_eq_u32_e64 s0, 3, v20
	v_mul_f16_e32 v5, v27, v5
	s_delay_alu instid0(VALU_DEP_3)
	v_cmp_lt_i32_e64 s1, 5, v2
	v_cmp_eq_u32_e64 s2, 3, v2
	v_cvt_f64_f32_e32 v[2:3], v3
	s_or_b32 vcc_lo, s0, vcc_lo
	v_fma_f16 v5, v29, v22, -v5
	v_add_co_ci_u32_e32 v11, vcc_lo, 0, v11, vcc_lo
	v_cmp_ne_u32_e32 vcc_lo, 0, v1
	v_cndmask_b32_e64 v1, 0, 1, vcc_lo
	v_cmp_gt_i32_e32 vcc_lo, 31, v21
	s_delay_alu instid0(VALU_DEP_2) | instskip(SKIP_4) | instid1(VALU_DEP_4)
	v_lshl_or_b32 v1, v1, 9, 0x7c00
	v_cndmask_b32_e32 v15, 0x7c00, v11, vcc_lo
	v_cmp_eq_u32_e32 vcc_lo, 0x40f, v21
	v_bfe_u32 v21, v4, 20, 11
	v_lshrrev_b32_e32 v4, 16, v4
	v_cndmask_b32_e32 v1, v15, v1, vcc_lo
	s_or_b32 vcc_lo, s2, s1
	v_mul_f64 v[11:12], v[8:9], s[10:11]
	v_lshrrev_b32_e32 v8, 2, v25
	v_and_or_b32 v9, 0x1ff, v18, v17
	v_cvt_f32_f16_e32 v17, v23
	v_and_or_b32 v1, 0x8000, v7, v1
	v_or_b32_e32 v25, 0x1000, v6
	v_add_co_ci_u32_e32 v8, vcc_lo, 0, v8, vcc_lo
	v_cmp_ne_u32_e32 vcc_lo, 0, v19
	v_cvt_f64_f32_e32 v[19:20], v17
	v_sub_nc_u32_e32 v17, 0x3f1, v21
	v_mul_f64 v[2:3], v[2:3], s[10:11]
	v_and_b32_e32 v1, 0xffff, v1
	v_cndmask_b32_e64 v15, 0, 1, vcc_lo
	v_cmp_gt_i32_e32 vcc_lo, 31, v24
	v_med3_i32 v17, v17, 0, 13
	v_bfe_u32 v23, v18, 20, 11
	s_delay_alu instid0(VALU_DEP_4) | instskip(SKIP_4) | instid1(VALU_DEP_4)
	v_lshl_or_b32 v15, v15, 9, 0x7c00
	v_cndmask_b32_e32 v8, 0x7c00, v8, vcc_lo
	v_cmp_eq_u32_e32 vcc_lo, 0x40f, v24
	v_lshrrev_b32_e32 v27, v17, v25
	v_sub_nc_u32_e32 v7, 0x3f1, v23
	v_cndmask_b32_e32 v8, v8, v15, vcc_lo
	v_lshrrev_b32_e32 v15, 16, v16
	v_cmp_ne_u32_e32 vcc_lo, 0, v9
	v_lshrrev_b32_e32 v16, 8, v18
	v_lshlrev_b32_e32 v17, v17, v27
	v_med3_i32 v7, v7, 0, 13
	v_and_or_b32 v8, 0x8000, v15, v8
	v_cndmask_b32_e64 v9, 0, 1, vcc_lo
	v_lshrrev_b32_e32 v18, 16, v18
	s_delay_alu instid0(VALU_DEP_3) | instskip(NEXT) | instid1(VALU_DEP_3)
	v_lshl_or_b32 v1, v8, 16, v1
	v_and_or_b32 v24, 0xffe, v16, v9
	v_and_or_b32 v11, 0x1ff, v12, v11
	ds_load_2addr_b32 v[8:9], v159 offset0:12 offset1:255
	global_store_b32 v[13:14], v1, off
	v_lshrrev_b32_e32 v1, 8, v12
	v_cmp_ne_u32_e32 vcc_lo, 0, v11
	v_or_b32_e32 v26, 0x1000, v24
	v_cndmask_b32_e64 v11, 0, 1, vcc_lo
	v_and_or_b32 v2, 0x1ff, v3, v2
	v_add_co_u32 v15, vcc_lo, v13, s8
	v_add_co_ci_u32_e32 v16, vcc_lo, s9, v14, vcc_lo
	s_delay_alu instid0(VALU_DEP_3)
	v_cmp_ne_u32_e32 vcc_lo, 0, v2
	v_and_or_b32 v29, 0xffe, v1, v11
	v_lshrrev_b32_e32 v28, v7, v26
	v_mul_f64 v[13:14], v[19:20], s[10:11]
	v_lshrrev_b32_e32 v19, 8, v3
	v_cndmask_b32_e64 v11, 0, 1, vcc_lo
	v_cmp_ne_u32_e32 vcc_lo, v17, v25
	v_lshlrev_b32_e32 v7, v7, v28
	v_add_nc_u32_e32 v17, 0xfffffc10, v21
	s_waitcnt lgkmcnt(0)
	v_lshrrev_b32_e32 v20, 16, v8
	v_add_nc_u32_e32 v25, 0xfffffc10, v23
	v_cndmask_b32_e64 v1, 0, 1, vcc_lo
	v_cmp_ne_u32_e32 vcc_lo, v7, v26
	scratch_load_b32 v26, off, off offset:112 ; 4-byte Folded Reload
	v_lshl_or_b32 v7, v17, 12, v6
	v_lshl_or_b32 v22, v25, 12, v24
	v_or_b32_e32 v1, v27, v1
	scratch_load_b32 v27, off, off offset:116 ; 4-byte Folded Reload
	v_cndmask_b32_e64 v2, 0, 1, vcc_lo
	v_cmp_gt_i32_e32 vcc_lo, 1, v17
	v_and_or_b32 v11, 0xffe, v19, v11
	v_or_b32_e32 v30, 0x1000, v29
	s_delay_alu instid0(VALU_DEP_4)
	v_or_b32_e32 v2, v28, v2
	v_cndmask_b32_e32 v23, v7, v1, vcc_lo
	v_cvt_f32_f16_e32 v1, v5
	v_cmp_gt_i32_e32 vcc_lo, 1, v25
	v_bfe_u32 v28, v3, 20, 11
	v_cndmask_b32_e32 v5, v22, v2, vcc_lo
	s_delay_alu instid0(VALU_DEP_4) | instskip(SKIP_4) | instid1(VALU_DEP_2)
	v_cvt_f64_f32_e32 v[1:2], v1
	v_and_or_b32 v13, 0x1ff, v14, v13
	s_waitcnt vmcnt(0)
	v_mul_f16_e32 v21, v27, v20
	v_mul_f16_e32 v7, v27, v8
	v_fmac_f16_e32 v21, v26, v8
	s_delay_alu instid0(VALU_DEP_2)
	v_fma_f16 v19, v26, v20, -v7
	v_and_b32_e32 v20, 7, v5
	v_lshrrev_b32_e32 v26, 16, v10
	v_lshrrev_b32_e32 v5, 2, v5
	v_cvt_f32_f16_e32 v8, v21
	v_and_b32_e32 v21, 7, v23
	v_cvt_f32_f16_e32 v19, v19
	v_cmp_lt_i32_e64 s1, 5, v20
	v_cmp_eq_u32_e64 s2, 3, v20
	v_cvt_f64_f32_e32 v[7:8], v8
	v_cmp_lt_i32_e32 vcc_lo, 5, v21
	v_cmp_eq_u32_e64 s0, 3, v21
	v_lshrrev_b32_e32 v21, 2, v23
	v_mul_f16_e32 v22, v32, v26
	v_cvt_f64_f32_e32 v[19:20], v19
	s_delay_alu instid0(VALU_DEP_4) | instskip(SKIP_4) | instid1(VALU_DEP_4)
	s_or_b32 vcc_lo, s0, vcc_lo
	v_cmp_ne_u32_e64 s0, 0, v13
	v_add_co_ci_u32_e32 v21, vcc_lo, 0, v21, vcc_lo
	v_cmp_ne_u32_e32 vcc_lo, 0, v6
	v_fmac_f16_e32 v22, v31, v10
	v_cndmask_b32_e64 v13, 0, 1, s0
	v_mul_f16_e32 v10, v32, v10
	v_cndmask_b32_e64 v6, 0, 1, vcc_lo
	v_cmp_gt_i32_e32 vcc_lo, 31, v17
	v_cvt_f32_f16_e32 v22, v22
	s_delay_alu instid0(VALU_DEP_3) | instskip(SKIP_2) | instid1(VALU_DEP_2)
	v_lshl_or_b32 v6, v6, 9, 0x7c00
	v_cndmask_b32_e32 v21, 0x7c00, v21, vcc_lo
	v_cmp_eq_u32_e32 vcc_lo, 0x40f, v17
	v_cndmask_b32_e32 v17, v21, v6, vcc_lo
	v_cvt_f64_f32_e32 v[21:22], v22
	s_or_b32 vcc_lo, s2, s1
	v_add_co_ci_u32_e32 v5, vcc_lo, 0, v5, vcc_lo
	v_cmp_ne_u32_e32 vcc_lo, 0, v24
	v_mul_f64 v[23:24], v[1:2], s[10:11]
	v_and_or_b32 v4, 0x8000, v4, v17
	v_bfe_u32 v17, v12, 20, 11
	v_lshrrev_b32_e32 v12, 16, v12
	v_cndmask_b32_e64 v27, 0, 1, vcc_lo
	v_cmp_gt_i32_e32 vcc_lo, 31, v25
	v_and_b32_e32 v4, 0xffff, v4
	s_delay_alu instid0(VALU_DEP_3)
	v_lshl_or_b32 v2, v27, 9, 0x7c00
	v_cndmask_b32_e32 v1, 0x7c00, v5, vcc_lo
	v_mul_f64 v[5:6], v[7:8], s[10:11]
	v_sub_nc_u32_e32 v7, 0x3f1, v28
	v_cmp_eq_u32_e32 vcc_lo, 0x40f, v25
	v_or_b32_e32 v27, 0x1000, v11
	s_delay_alu instid0(VALU_DEP_3)
	v_med3_i32 v25, v7, 0, 13
	v_mul_f64 v[7:8], v[19:20], s[10:11]
	v_cndmask_b32_e32 v1, v1, v2, vcc_lo
	v_lshrrev_b32_e32 v2, 8, v14
	v_add_co_u32 v20, s0, v15, s12
	v_lshrrev_b32_e32 v19, v25, v27
	s_delay_alu instid0(VALU_DEP_4) | instskip(NEXT) | instid1(VALU_DEP_4)
	v_and_or_b32 v1, 0x8000, v18, v1
	v_and_or_b32 v13, 0xffe, v2, v13
	v_sub_nc_u32_e32 v2, 0x3f1, v17
	v_add_nc_u32_e32 v17, 0xfffffc10, v17
	v_lshlrev_b32_e32 v18, v25, v19
	v_lshl_or_b32 v4, v1, 16, v4
	s_delay_alu instid0(VALU_DEP_4)
	v_med3_i32 v25, v2, 0, 13
	v_mul_f64 v[1:2], v[21:22], s[10:11]
	v_add_co_ci_u32_e64 v21, s0, s7, v16, s0
	global_store_b32 v[15:16], v4, off
	v_lshrrev_b32_e32 v15, v25, v30
	v_fma_f16 v22, v31, v26, -v10
	v_and_or_b32 v4, 0x1ff, v24, v23
	v_lshrrev_b32_e32 v10, 8, v24
	v_cmp_ne_u32_e32 vcc_lo, v18, v27
	v_lshlrev_b32_e32 v25, v25, v15
	v_bfe_u32 v18, v14, 20, 11
	v_cmp_ne_u32_e64 s0, 0, v4
	v_cvt_f32_f16_e32 v22, v22
	v_add_nc_u32_e32 v27, 0xfffffc10, v28
	v_lshrrev_b32_e32 v14, 16, v14
	v_sub_nc_u32_e32 v16, 0x3f1, v18
	v_cndmask_b32_e64 v4, 0, 1, s0
	v_and_or_b32 v5, 0x1ff, v6, v5
	v_lshrrev_b32_e32 v23, 8, v6
	v_add_nc_u32_e32 v18, 0xfffffc10, v18
	v_med3_i32 v16, v16, 0, 13
	v_and_or_b32 v26, 0xffe, v10, v4
	v_cmp_ne_u32_e64 s0, 0, v5
	v_bfe_u32 v28, v6, 20, 11
	v_and_or_b32 v4, 0x1ff, v8, v7
	v_lshrrev_b32_e32 v7, 8, v8
	v_lshrrev_b32_e32 v6, 16, v6
	v_cndmask_b32_e64 v5, 0, 1, s0
	v_cmp_ne_u32_e64 s0, v25, v30
	v_or_b32_e32 v25, 0x1000, v26
	s_delay_alu instid0(VALU_DEP_3) | instskip(NEXT) | instid1(VALU_DEP_3)
	v_and_or_b32 v10, 0xffe, v23, v5
	v_cndmask_b32_e64 v5, 0, 1, s0
	v_cmp_ne_u32_e64 s0, 0, v4
	v_or_b32_e32 v23, 0x1000, v13
	s_delay_alu instid0(VALU_DEP_4) | instskip(NEXT) | instid1(VALU_DEP_4)
	v_or_b32_e32 v32, 0x1000, v10
	v_or_b32_e32 v5, v15, v5
	s_delay_alu instid0(VALU_DEP_4) | instskip(SKIP_3) | instid1(VALU_DEP_4)
	v_cndmask_b32_e64 v4, 0, 1, s0
	v_lshl_or_b32 v15, v17, 12, v29
	v_cmp_gt_i32_e64 s0, 1, v17
	v_and_or_b32 v1, 0x1ff, v2, v1
	v_and_or_b32 v7, 0xffe, v7, v4
	v_lshrrev_b32_e32 v4, v16, v23
	s_delay_alu instid0(VALU_DEP_4) | instskip(NEXT) | instid1(VALU_DEP_4)
	v_cndmask_b32_e64 v5, v15, v5, s0
	v_cmp_ne_u32_e64 s0, 0, v1
	s_delay_alu instid0(VALU_DEP_3) | instskip(NEXT) | instid1(VALU_DEP_3)
	v_lshlrev_b32_e32 v15, v16, v4
	v_and_b32_e32 v16, 7, v5
	s_delay_alu instid0(VALU_DEP_3) | instskip(SKIP_1) | instid1(VALU_DEP_4)
	v_cndmask_b32_e64 v1, 0, 1, s0
	v_lshrrev_b32_e32 v5, 2, v5
	v_cmp_ne_u32_e64 s0, v15, v23
	v_lshrrev_b32_e32 v15, 8, v2
	v_cmp_lt_i32_e64 s1, 5, v16
	s_delay_alu instid0(VALU_DEP_2) | instskip(NEXT) | instid1(VALU_DEP_4)
	v_and_or_b32 v1, 0xffe, v15, v1
	v_cndmask_b32_e64 v15, 0, 1, s0
	v_cmp_eq_u32_e64 s0, 3, v16
	v_bfe_u32 v16, v24, 20, 11
	s_delay_alu instid0(VALU_DEP_3) | instskip(NEXT) | instid1(VALU_DEP_3)
	v_or_b32_e32 v4, v4, v15
	s_or_b32 s0, s0, s1
	v_lshl_or_b32 v15, v18, 12, v13
	v_add_co_ci_u32_e64 v5, s0, 0, v5, s0
	v_cmp_ne_u32_e64 s0, 0, v29
	v_lshl_or_b32 v29, v27, 12, v11
	s_delay_alu instid0(VALU_DEP_2) | instskip(SKIP_1) | instid1(VALU_DEP_2)
	v_cndmask_b32_e64 v23, 0, 1, s0
	v_cmp_gt_i32_e64 s0, 1, v18
	v_lshl_or_b32 v23, v23, 9, 0x7c00
	s_delay_alu instid0(VALU_DEP_2) | instskip(SKIP_2) | instid1(VALU_DEP_2)
	v_cndmask_b32_e64 v4, v15, v4, s0
	v_cmp_gt_i32_e64 s0, 31, v17
	v_sub_nc_u32_e32 v15, 0x3f1, v16
	v_cndmask_b32_e64 v5, 0x7c00, v5, s0
	v_cmp_eq_u32_e64 s0, 0x40f, v17
	v_and_b32_e32 v17, 7, v4
	v_lshrrev_b32_e32 v4, 2, v4
	v_med3_i32 v15, v15, 0, 13
	s_delay_alu instid0(VALU_DEP_4) | instskip(NEXT) | instid1(VALU_DEP_4)
	v_cndmask_b32_e64 v23, v5, v23, s0
	v_cmp_lt_i32_e64 s0, 5, v17
	v_cmp_eq_u32_e64 s1, 3, v17
	s_delay_alu instid0(VALU_DEP_4) | instskip(NEXT) | instid1(VALU_DEP_4)
	v_lshrrev_b32_e32 v17, v15, v25
	v_and_or_b32 v12, 0x8000, v12, v23
	s_delay_alu instid0(VALU_DEP_3) | instskip(NEXT) | instid1(VALU_DEP_2)
	s_or_b32 s0, s1, s0
	v_lshlrev_b32_e32 v15, v15, v17
	v_add_co_ci_u32_e64 v4, s0, 0, v4, s0
	v_cmp_ne_u32_e64 s0, 0, v13
	v_cndmask_b32_e64 v13, 0, 1, vcc_lo
	v_cmp_gt_i32_e32 vcc_lo, 31, v18
	v_cmp_gt_i32_e64 s1, 31, v27
	v_and_b32_e32 v12, 0xffff, v12
	v_cndmask_b32_e64 v5, 0, 1, s0
	v_or_b32_e32 v13, v19, v13
	v_cndmask_b32_e32 v4, 0x7c00, v4, vcc_lo
	v_cmp_eq_u32_e32 vcc_lo, 0x40f, v18
	ds_load_2addr_b32 v[18:19], v161 offset0:2 offset1:245
	v_lshl_or_b32 v5, v5, 9, 0x7c00
	s_delay_alu instid0(VALU_DEP_1)
	v_cndmask_b32_e32 v30, v4, v5, vcc_lo
	v_cvt_f64_f32_e32 v[4:5], v22
	v_cmp_gt_i32_e32 vcc_lo, 1, v27
	v_add_nc_u32_e32 v22, 0xfffffc10, v16
	v_sub_nc_u32_e32 v16, 0x3f1, v28
	v_and_or_b32 v14, 0x8000, v14, v30
	v_dual_cndmask_b32 v13, v29, v13 :: v_dual_add_nc_u32 v28, 0xfffffc10, v28
	v_cmp_ne_u32_e32 vcc_lo, v15, v25
	v_cmp_gt_i32_e64 s0, 1, v22
	v_med3_i32 v29, v16, 0, 13
	v_lshl_or_b32 v14, v14, 16, v12
	v_and_b32_e32 v25, 7, v13
	v_cndmask_b32_e64 v15, 0, 1, vcc_lo
	s_waitcnt lgkmcnt(0)
	v_lshrrev_b32_e32 v31, 16, v18
	v_lshrrev_b32_e32 v13, 2, v13
	global_store_b32 v[20:21], v14, off
	v_cmp_lt_i32_e32 vcc_lo, 5, v25
	v_or_b32_e32 v15, v17, v15
	v_lshl_or_b32 v17, v22, 12, v26
	s_delay_alu instid0(VALU_DEP_1)
	v_cndmask_b32_e64 v15, v17, v15, s0
	v_cmp_eq_u32_e64 s0, 3, v25
	v_mul_f16_e32 v17, v36, v31
	v_lshrrev_b32_e32 v25, 16, v3
	v_bfe_u32 v3, v2, 20, 11
	v_and_b32_e32 v16, 7, v15
	s_or_b32 vcc_lo, s0, vcc_lo
	v_fmac_f16_e32 v17, v35, v18
	v_add_co_ci_u32_e32 v13, vcc_lo, 0, v13, vcc_lo
	v_cmp_ne_u32_e32 vcc_lo, 0, v11
	v_cmp_eq_u32_e64 s0, 3, v16
	s_delay_alu instid0(VALU_DEP_4)
	v_cvt_f32_f16_e32 v23, v17
	v_lshrrev_b32_e32 v15, 2, v15
	v_cndmask_b32_e64 v13, 0x7c00, v13, s1
	v_cndmask_b32_e64 v11, 0, 1, vcc_lo
	v_cmp_lt_i32_e32 vcc_lo, 5, v16
	v_mul_f64 v[16:17], v[4:5], s[10:11]
	v_cmp_eq_u32_e64 s1, 0x40f, v27
	v_cvt_f64_f32_e32 v[4:5], v23
	v_lshl_or_b32 v11, v11, 9, 0x7c00
	s_or_b32 vcc_lo, s0, vcc_lo
	v_lshrrev_b32_e32 v27, v29, v32
	v_add_co_ci_u32_e32 v15, vcc_lo, 0, v15, vcc_lo
	v_cmp_ne_u32_e32 vcc_lo, 0, v26
	v_cndmask_b32_e64 v11, v13, v11, s1
	s_delay_alu instid0(VALU_DEP_4)
	v_lshlrev_b32_e32 v29, v29, v27
	v_bfe_u32 v13, v8, 20, 11
	v_cmp_gt_i32_e64 s1, 31, v28
	v_cndmask_b32_e64 v23, 0, 1, vcc_lo
	v_cmp_gt_i32_e32 vcc_lo, 31, v22
	v_and_or_b32 v11, 0x8000, v25, v11
	v_sub_nc_u32_e32 v26, 0x3f1, v13
	v_lshrrev_b32_e32 v8, 16, v8
	v_lshl_or_b32 v23, v23, 9, 0x7c00
	v_cndmask_b32_e32 v15, 0x7c00, v15, vcc_lo
	v_cmp_eq_u32_e32 vcc_lo, 0x40f, v22
	v_and_b32_e32 v11, 0xffff, v11
	v_med3_i32 v22, v26, 0, 13
	v_or_b32_e32 v26, 0x1000, v7
	v_cndmask_b32_e32 v15, v15, v23, vcc_lo
	v_lshrrev_b32_e32 v23, 16, v24
	v_sub_nc_u32_e32 v24, 0x3f1, v3
	s_delay_alu instid0(VALU_DEP_4) | instskip(NEXT) | instid1(VALU_DEP_3)
	v_lshrrev_b32_e32 v30, v22, v26
	v_and_or_b32 v15, 0x8000, v23, v15
	s_delay_alu instid0(VALU_DEP_3) | instskip(NEXT) | instid1(VALU_DEP_3)
	v_med3_i32 v33, v24, 0, 13
	v_lshlrev_b32_e32 v34, v22, v30
	v_or_b32_e32 v23, 0x1000, v1
	s_delay_alu instid0(VALU_DEP_4) | instskip(SKIP_3) | instid1(VALU_DEP_3)
	v_lshl_or_b32 v15, v15, 16, v11
	v_add_co_u32 v11, vcc_lo, v20, s12
	v_add_co_ci_u32_e32 v12, vcc_lo, s7, v21, vcc_lo
	v_and_or_b32 v14, 0x1ff, v17, v16
	v_add_co_u32 v24, vcc_lo, v11, s8
	s_delay_alu instid0(VALU_DEP_3) | instskip(NEXT) | instid1(VALU_DEP_3)
	v_add_co_ci_u32_e32 v25, vcc_lo, s9, v12, vcc_lo
	v_cmp_ne_u32_e32 vcc_lo, 0, v14
	global_store_b32 v[11:12], v15, off
	v_mul_f16_e32 v15, v36, v18
	scratch_load_b32 v36, off, off offset:84 ; 4-byte Folded Reload
	v_lshrrev_b32_e32 v16, 16, v9
	v_cndmask_b32_e64 v14, 0, 1, vcc_lo
	v_cmp_ne_u32_e32 vcc_lo, v29, v32
	scratch_load_b32 v32, off, off offset:92 ; 4-byte Folded Reload
	v_fma_f16 v11, v35, v31, -v15
	scratch_load_b32 v35, off, off offset:88 ; 4-byte Folded Reload
	v_lshrrev_b32_e32 v15, 8, v17
	v_cndmask_b32_e64 v18, 0, 1, vcc_lo
	v_bfe_u32 v21, v17, 20, 11
	v_cvt_f32_f16_e32 v11, v11
	v_cmp_gt_i32_e32 vcc_lo, 1, v28
	v_and_or_b32 v22, 0xffe, v15, v14
	v_or_b32_e32 v15, v27, v18
	v_lshl_or_b32 v18, v28, 12, v10
	v_cvt_f64_f32_e32 v[11:12], v11
	v_sub_nc_u32_e32 v14, 0x3f1, v21
	v_mul_f64 v[4:5], v[4:5], s[10:11]
	v_lshrrev_b32_e32 v20, v33, v23
	v_cndmask_b32_e32 v15, v18, v15, vcc_lo
	v_cmp_ne_u32_e32 vcc_lo, v34, v26
	v_med3_i32 v31, v14, 0, 13
	v_add_nc_u32_e32 v26, 0xfffffc10, v13
	v_lshrrev_b32_e32 v34, 16, v19
	v_lshlrev_b32_e32 v27, v33, v20
	v_cndmask_b32_e64 v18, 0, 1, vcc_lo
	v_add_nc_u32_e32 v21, 0xfffffc10, v21
	v_cmp_gt_i32_e64 s0, 1, v26
	s_delay_alu instid0(VALU_DEP_3) | instskip(SKIP_1) | instid1(VALU_DEP_1)
	v_or_b32_e32 v18, v30, v18
	v_lshl_or_b32 v30, v26, 12, v7
	v_cndmask_b32_e64 v18, v30, v18, s0
	v_mul_f64 v[11:12], v[11:12], s[10:11]
	v_and_or_b32 v4, 0x1ff, v5, v4
	s_waitcnt vmcnt(1)
	v_mul_f16_e32 v29, v32, v16
	s_waitcnt vmcnt(0)
	s_delay_alu instid0(VALU_DEP_1) | instskip(SKIP_2) | instid1(VALU_DEP_3)
	v_fmac_f16_e32 v29, v35, v9
	v_mul_f16_e32 v9, v32, v9
	v_or_b32_e32 v32, 0x1000, v22
	v_cvt_f32_f16_e32 v14, v29
	v_and_b32_e32 v29, 7, v15
	s_delay_alu instid0(VALU_DEP_4)
	v_fma_f16 v9, v35, v16, -v9
	v_lshrrev_b32_e32 v15, 2, v15
	v_bfe_u32 v35, v12, 20, 11
	v_cvt_f64_f32_e32 v[13:14], v14
	v_cmp_lt_i32_e32 vcc_lo, 5, v29
	v_cmp_eq_u32_e64 s0, 3, v29
	v_cvt_f32_f16_e32 v9, v9
	v_and_b32_e32 v29, 7, v18
	v_lshrrev_b32_e32 v18, 2, v18
	s_delay_alu instid0(VALU_DEP_4)
	s_or_b32 vcc_lo, s0, vcc_lo
	v_add_co_ci_u32_e32 v30, vcc_lo, 0, v15, vcc_lo
	v_cmp_ne_u32_e32 vcc_lo, 0, v10
	v_cvt_f64_f32_e32 v[15:16], v9
	v_cmp_eq_u32_e64 s0, 3, v29
	v_cndmask_b32_e64 v9, 0, 1, vcc_lo
	v_cmp_lt_i32_e32 vcc_lo, 5, v29
	v_cndmask_b32_e64 v29, 0x7c00, v30, s1
	s_delay_alu instid0(VALU_DEP_3)
	v_lshl_or_b32 v30, v9, 9, 0x7c00
	s_or_b32 vcc_lo, s0, vcc_lo
	ds_load_2addr_b32 v[9:10], v149 offset0:10 offset1:253
	v_add_co_ci_u32_e32 v18, vcc_lo, 0, v18, vcc_lo
	v_cmp_ne_u32_e32 vcc_lo, 0, v7
	v_cndmask_b32_e64 v7, 0, 1, vcc_lo
	v_cmp_eq_u32_e32 vcc_lo, 0x40f, v28
	s_delay_alu instid0(VALU_DEP_2) | instskip(SKIP_3) | instid1(VALU_DEP_3)
	v_lshl_or_b32 v7, v7, 9, 0x7c00
	v_cndmask_b32_e32 v28, v29, v30, vcc_lo
	v_cmp_gt_i32_e32 vcc_lo, 31, v26
	v_mul_f64 v[13:14], v[13:14], s[10:11]
	v_and_or_b32 v6, 0x8000, v6, v28
	v_cndmask_b32_e32 v18, 0x7c00, v18, vcc_lo
	v_cmp_ne_u32_e32 vcc_lo, 0, v4
	s_waitcnt lgkmcnt(0)
	v_lshrrev_b32_e32 v28, 16, v9
	v_and_b32_e32 v6, 0xffff, v6
	v_cndmask_b32_e64 v4, 0, 1, vcc_lo
	v_cmp_eq_u32_e32 vcc_lo, 0x40f, v26
	v_mul_f64 v[15:16], v[15:16], s[10:11]
	v_mul_f16_e32 v30, v38, v28
	v_bfe_u32 v26, v5, 20, 11
	v_cndmask_b32_e32 v7, v18, v7, vcc_lo
	v_lshrrev_b32_e32 v18, 8, v5
	s_delay_alu instid0(VALU_DEP_4) | instskip(NEXT) | instid1(VALU_DEP_4)
	v_fmac_f16_e32 v30, v39, v9
	v_sub_nc_u32_e32 v29, 0x3f1, v26
	v_lshrrev_b32_e32 v5, 16, v5
	v_and_or_b32 v7, 0x8000, v8, v7
	v_and_or_b32 v18, 0xffe, v18, v4
	v_lshrrev_b32_e32 v8, v31, v32
	v_med3_i32 v29, v29, 0, 13
	s_delay_alu instid0(VALU_DEP_4)
	v_lshl_or_b32 v4, v7, 16, v6
	v_add_co_u32 v6, vcc_lo, v24, s12
	v_add_co_ci_u32_e32 v7, vcc_lo, s7, v25, vcc_lo
	global_store_b32 v[24:25], v4, off
	v_and_or_b32 v4, 0x1ff, v12, v11
	v_cvt_f32_f16_e32 v11, v30
	v_mul_f16_e32 v30, v36, v34
	v_mul_f16_e32 v36, v36, v19
	v_lshlrev_b32_e32 v31, v31, v8
	v_cmp_ne_u32_e32 vcc_lo, 0, v4
	v_cvt_f64_f32_e32 v[24:25], v11
	v_lshrrev_b32_e32 v11, 8, v12
	v_and_or_b32 v13, 0x1ff, v14, v13
	v_fmac_f16_e32 v30, v40, v19
	v_cndmask_b32_e64 v4, 0, 1, vcc_lo
	v_or_b32_e32 v33, 0x1000, v18
	v_fma_f16 v34, v40, v34, -v36
	v_cmp_ne_u32_e32 vcc_lo, 0, v13
	v_lshrrev_b32_e32 v13, 8, v14
	v_and_or_b32 v19, 0xffe, v11, v4
	v_sub_nc_u32_e32 v4, 0x3f1, v35
	v_cvt_f32_f16_e32 v30, v30
	v_cndmask_b32_e64 v11, 0, 1, vcc_lo
	v_cmp_ne_u32_e32 vcc_lo, v27, v23
	v_lshrrev_b32_e32 v37, v29, v33
	v_med3_i32 v27, v4, 0, 13
	v_mul_f16_e32 v4, v38, v9
	v_add_nc_u32_e32 v38, 0xfffffc10, v3
	v_cndmask_b32_e64 v9, 0, 1, vcc_lo
	v_cmp_ne_u32_e32 vcc_lo, v31, v32
	v_and_or_b32 v11, 0xffe, v13, v11
	v_fma_f16 v3, v39, v28, -v4
	v_and_or_b32 v4, 0x1ff, v16, v15
	v_or_b32_e32 v9, v20, v9
	v_cndmask_b32_e64 v20, 0, 1, vcc_lo
	v_lshl_or_b32 v15, v38, 12, v1
	v_bfe_u32 v13, v14, 20, 11
	v_cmp_ne_u32_e32 vcc_lo, 0, v4
	v_cmp_gt_i32_e64 s1, 31, v38
	v_or_b32_e32 v8, v8, v20
	v_cvt_f32_f16_e32 v20, v3
	v_bfe_u32 v32, v16, 20, 11
	v_cndmask_b32_e64 v28, 0, 1, vcc_lo
	v_cmp_gt_i32_e32 vcc_lo, 1, v38
	v_lshlrev_b32_e32 v23, v29, v37
	v_or_b32_e32 v29, 0x1000, v19
	v_lshrrev_b32_e32 v12, 16, v12
	v_cndmask_b32_e32 v15, v15, v9, vcc_lo
	v_lshl_or_b32 v9, v21, 12, v22
	v_cmp_gt_i32_e32 vcc_lo, 1, v21
	v_mul_f64 v[3:4], v[24:25], s[10:11]
	s_delay_alu instid0(VALU_DEP_4)
	v_and_b32_e32 v24, 7, v15
	v_lshrrev_b32_e32 v31, 2, v15
	v_cndmask_b32_e32 v25, v9, v8, vcc_lo
	v_cvt_f64_f32_e32 v[8:9], v20
	v_lshrrev_b32_e32 v20, 8, v16
	v_cmp_lt_i32_e32 vcc_lo, 5, v24
	v_cmp_eq_u32_e64 s0, 3, v24
	v_sub_nc_u32_e32 v24, 0x3f1, v13
	v_add_nc_u32_e32 v13, 0xfffffc10, v13
	v_and_or_b32 v15, 0xffe, v20, v28
	v_and_b32_e32 v20, 7, v25
	s_or_b32 vcc_lo, s0, vcc_lo
	v_lshrrev_b32_e32 v25, 2, v25
	v_add_co_ci_u32_e32 v28, vcc_lo, 0, v31, vcc_lo
	v_cmp_ne_u32_e32 vcc_lo, 0, v1
	v_cmp_eq_u32_e64 s0, 3, v20
	v_lshrrev_b32_e32 v31, v27, v29
	v_lshrrev_b32_e32 v16, 16, v16
	v_cndmask_b32_e64 v1, 0, 1, vcc_lo
	v_cmp_lt_i32_e32 vcc_lo, 5, v20
	v_med3_i32 v20, v24, 0, 13
	v_cndmask_b32_e64 v24, 0x7c00, v28, s1
	v_cmp_eq_u32_e64 s1, 0x40f, v38
	v_lshl_or_b32 v1, v1, 9, 0x7c00
	s_or_b32 vcc_lo, s0, vcc_lo
	v_sub_nc_u32_e32 v38, 0x3f1, v32
	v_add_co_ci_u32_e32 v25, vcc_lo, 0, v25, vcc_lo
	v_cmp_ne_u32_e32 vcc_lo, 0, v22
	v_cndmask_b32_e64 v24, v24, v1, s1
	v_or_b32_e32 v28, 0x1000, v11
	v_cmp_ne_u32_e64 s1, 0, v18
	v_add_nc_u32_e32 v32, 0xfffffc10, v32
	v_cndmask_b32_e64 v22, 0, 1, vcc_lo
	v_cmp_gt_i32_e32 vcc_lo, 31, v21
	v_and_or_b32 v3, 0x1ff, v4, v3
	v_lshrrev_b32_e32 v39, v20, v28
	v_lshrrev_b32_e32 v44, 16, v4
	v_lshl_or_b32 v22, v22, 9, 0x7c00
	v_cndmask_b32_e32 v1, 0x7c00, v25, vcc_lo
	v_cmp_eq_u32_e32 vcc_lo, 0x40f, v21
	v_lshrrev_b32_e32 v25, 16, v2
	s_delay_alu instid0(VALU_DEP_3) | instskip(SKIP_2) | instid1(VALU_DEP_4)
	v_cndmask_b32_e32 v21, v1, v22, vcc_lo
	v_mul_f64 v[1:2], v[8:9], s[10:11]
	v_lshrrev_b32_e32 v8, 16, v17
	v_and_or_b32 v9, 0x8000, v25, v24
	v_cmp_ne_u32_e32 vcc_lo, 0, v3
	v_med3_i32 v22, v38, 0, 13
	v_or_b32_e32 v17, 0x1000, v15
	v_and_or_b32 v21, 0x8000, v8, v21
	v_and_b32_e32 v36, 0xffff, v9
	v_cvt_f64_f32_e32 v[8:9], v30
	v_cndmask_b32_e64 v3, 0, 1, vcc_lo
	v_lshrrev_b32_e32 v24, 8, v4
	v_bfe_u32 v25, v4, 20, 11
	v_cmp_ne_u32_e32 vcc_lo, v23, v33
	v_lshl_or_b32 v21, v21, 16, v36
	v_lshrrev_b32_e32 v30, v22, v17
	v_and_or_b32 v3, 0xffe, v24, v3
	v_sub_nc_u32_e32 v24, 0x3f1, v25
	v_lshlrev_b32_e32 v38, v27, v31
	v_lshlrev_b32_e32 v36, v20, v39
	v_cndmask_b32_e64 v23, 0, 1, vcc_lo
	v_add_co_u32 v20, vcc_lo, v6, s12
	global_store_b32 v[6:7], v21, off
	v_add_co_ci_u32_e32 v21, vcc_lo, s7, v7, vcc_lo
	v_lshlrev_b32_e32 v40, v22, v30
	v_med3_i32 v22, v24, 0, 13
	v_add_nc_u32_e32 v24, 0xfffffc10, v26
	v_cmp_ne_u32_e32 vcc_lo, v38, v29
	v_or_b32_e32 v6, v37, v23
	v_add_nc_u32_e32 v29, 0xfffffc10, v35
	v_or_b32_e32 v41, 0x1000, v3
	v_lshl_or_b32 v7, v24, 12, v18
	v_cndmask_b32_e64 v23, 0, 1, vcc_lo
	v_cmp_gt_i32_e32 vcc_lo, 1, v24
	v_cndmask_b32_e64 v18, 0, 1, s1
	v_cmp_gt_i32_e64 s1, 31, v24
	v_lshrrev_b32_e32 v27, v22, v41
	v_and_or_b32 v1, 0x1ff, v2, v1
	v_cndmask_b32_e32 v33, v7, v6, vcc_lo
	v_or_b32_e32 v6, v31, v23
	v_lshl_or_b32 v7, v29, 12, v19
	v_lshrrev_b32_e32 v31, 8, v2
	v_cmp_ne_u32_e32 vcc_lo, 0, v1
	v_and_b32_e32 v23, 7, v33
	v_lshl_or_b32 v18, v18, 9, 0x7c00
	v_bfe_u32 v26, v2, 20, 11
	v_lshrrev_b32_e32 v2, 16, v2
	v_cndmask_b32_e64 v1, 0, 1, vcc_lo
	v_cmp_gt_i32_e32 vcc_lo, 1, v29
	v_cmp_eq_u32_e64 s0, 3, v23
	s_delay_alu instid0(VALU_DEP_3)
	v_and_or_b32 v1, 0xffe, v31, v1
	v_cndmask_b32_e32 v35, v7, v6, vcc_lo
	v_mul_f64 v[6:7], v[8:9], s[10:11]
	v_cmp_lt_i32_e32 vcc_lo, 5, v23
	v_lshrrev_b32_e32 v8, 2, v33
	v_sub_nc_u32_e32 v23, 0x3f1, v26
	v_and_b32_e32 v9, 7, v35
	v_lshrrev_b32_e32 v33, 2, v35
	s_or_b32 vcc_lo, s0, vcc_lo
	v_or_b32_e32 v35, 0x1000, v1
	v_add_co_ci_u32_e32 v31, vcc_lo, 0, v8, vcc_lo
	v_cmp_lt_i32_e32 vcc_lo, 5, v9
	v_cmp_eq_u32_e64 s0, 3, v9
	ds_load_2addr_b32 v[8:9], v144 offset0:2 offset1:245
	v_cndmask_b32_e64 v31, 0x7c00, v31, s1
	v_med3_i32 v23, v23, 0, 13
	v_add_nc_u32_e32 v26, 0xfffffc10, v26
	s_or_b32 vcc_lo, s0, vcc_lo
	v_add_co_ci_u32_e32 v33, vcc_lo, 0, v33, vcc_lo
	v_cmp_ne_u32_e32 vcc_lo, 0, v19
	v_cndmask_b32_e64 v19, 0, 1, vcc_lo
	v_cmp_eq_u32_e32 vcc_lo, 0x40f, v24
	s_delay_alu instid0(VALU_DEP_2) | instskip(SKIP_3) | instid1(VALU_DEP_3)
	v_lshl_or_b32 v19, v19, 9, 0x7c00
	v_cndmask_b32_e32 v18, v31, v18, vcc_lo
	v_cmp_gt_i32_e32 vcc_lo, 31, v29
	v_lshrrev_b32_e32 v31, v23, v35
	v_and_or_b32 v18, 0x8000, v5, v18
	v_cndmask_b32_e32 v24, 0x7c00, v33, vcc_lo
	v_cmp_eq_u32_e32 vcc_lo, 0x40f, v29
	s_waitcnt lgkmcnt(0)
	v_lshrrev_b32_e32 v33, 16, v8
	v_lshlrev_b32_e32 v37, v23, v31
	v_dual_cndmask_b32 v19, v24, v19 :: v_dual_and_b32 v18, 0xffff, v18
	v_cvt_f32_f16_e32 v24, v34
	v_and_or_b32 v34, 0x1ff, v7, v6
	v_mul_f16_e32 v29, v43, v33
	s_delay_alu instid0(VALU_DEP_4) | instskip(NEXT) | instid1(VALU_DEP_4)
	v_and_or_b32 v12, 0x8000, v12, v19
	v_cvt_f64_f32_e32 v[5:6], v24
	s_delay_alu instid0(VALU_DEP_4) | instskip(NEXT) | instid1(VALU_DEP_4)
	v_cmp_ne_u32_e32 vcc_lo, 0, v34
	v_fmac_f16_e32 v29, v42, v8
	v_mul_f16_e32 v8, v43, v8
	v_lshl_or_b32 v38, v12, 16, v18
	v_lshlrev_b32_e32 v34, v22, v27
	v_cndmask_b32_e64 v19, 0, 1, vcc_lo
	v_cmp_ne_u32_e32 vcc_lo, v36, v28
	v_fma_f16 v8, v42, v33, -v8
	scratch_load_b32 v42, off, off offset:56 ; 4-byte Folded Reload
	v_cvt_f32_f16_e32 v29, v29
	v_lshl_or_b32 v18, v13, 12, v11
	v_cndmask_b32_e64 v12, 0, 1, vcc_lo
	v_cmp_ne_u32_e32 vcc_lo, v40, v17
	scratch_load_b32 v40, off, off offset:60 ; 4-byte Folded Reload
	v_cvt_f64_f32_e32 v[22:23], v29
	v_lshrrev_b32_e32 v24, 8, v7
	v_or_b32_e32 v12, v39, v12
	v_cndmask_b32_e64 v17, 0, 1, vcc_lo
	v_cmp_gt_i32_e32 vcc_lo, 1, v13
	v_lshrrev_b32_e32 v33, 16, v10
	v_and_or_b32 v19, 0xffe, v24, v19
	v_lshl_or_b32 v24, v32, 12, v15
	v_or_b32_e32 v17, v30, v17
	v_cndmask_b32_e32 v12, v18, v12, vcc_lo
	v_cmp_gt_i32_e32 vcc_lo, 1, v32
	v_cvt_f32_f16_e32 v8, v8
	global_store_b32 v[20:21], v38, off
	v_dual_cndmask_b32 v36, v24, v17 :: v_dual_and_b32 v39, 7, v12
	v_cvt_f64_f32_e32 v[28:29], v8
	v_lshrrev_b32_e32 v12, 2, v12
	v_bfe_u32 v24, v7, 20, 11
	s_delay_alu instid0(VALU_DEP_4) | instskip(SKIP_4) | instid1(VALU_DEP_4)
	v_cmp_lt_i32_e32 vcc_lo, 5, v39
	v_cmp_eq_u32_e64 s0, 3, v39
	v_and_b32_e32 v8, 7, v36
	v_lshrrev_b32_e32 v7, 16, v7
	v_mul_f64 v[17:18], v[5:6], s[10:11]
	s_or_b32 vcc_lo, s0, vcc_lo
	s_delay_alu instid0(VALU_DEP_3)
	v_cmp_lt_i32_e64 s1, 5, v8
	v_cmp_eq_u32_e64 s2, 3, v8
	v_add_co_ci_u32_e32 v8, vcc_lo, 0, v12, vcc_lo
	v_cmp_ne_u32_e32 vcc_lo, 0, v11
	v_mul_f64 v[11:12], v[22:23], s[10:11]
	v_and_or_b32 v17, 0x1ff, v18, v17
	s_delay_alu instid0(VALU_DEP_2) | instskip(SKIP_2) | instid1(VALU_DEP_1)
	v_and_or_b32 v11, 0x1ff, v12, v11
	s_waitcnt vmcnt(0)
	v_mul_f16_e32 v30, v40, v33
	v_fmac_f16_e32 v30, v42, v10
	v_mul_f16_e32 v10, v40, v10
	s_delay_alu instid0(VALU_DEP_2)
	v_cvt_f32_f16_e32 v5, v30
	v_lshrrev_b32_e32 v30, 2, v36
	v_cndmask_b32_e64 v36, 0, 1, vcc_lo
	s_or_b32 vcc_lo, s2, s1
	v_fma_f16 v33, v42, v33, -v10
	v_cvt_f64_f32_e32 v[5:6], v5
	v_add_co_ci_u32_e32 v22, vcc_lo, 0, v30, vcc_lo
	v_cmp_ne_u32_e32 vcc_lo, 0, v15
	v_lshl_or_b32 v23, v36, 9, 0x7c00
	v_bfe_u32 v30, v18, 20, 11
	v_cndmask_b32_e64 v15, 0, 1, vcc_lo
	v_cmp_gt_i32_e32 vcc_lo, 31, v13
	s_delay_alu instid0(VALU_DEP_2)
	v_lshl_or_b32 v15, v15, 9, 0x7c00
	v_cndmask_b32_e32 v8, 0x7c00, v8, vcc_lo
	v_cmp_gt_i32_e32 vcc_lo, 31, v32
	v_cndmask_b32_e32 v22, 0x7c00, v22, vcc_lo
	v_cmp_eq_u32_e32 vcc_lo, 0x40f, v13
	v_lshrrev_b32_e32 v13, 16, v14
	v_cndmask_b32_e32 v8, v8, v23, vcc_lo
	v_cmp_eq_u32_e32 vcc_lo, 0x40f, v32
	v_sub_nc_u32_e32 v23, 0x3f1, v24
	v_or_b32_e32 v32, 0x1000, v19
	v_add_nc_u32_e32 v24, 0xfffffc10, v24
	v_and_or_b32 v8, 0x8000, v13, v8
	v_mul_f64 v[13:14], v[28:29], s[10:11]
	v_cndmask_b32_e32 v15, v22, v15, vcc_lo
	v_med3_i32 v22, v23, 0, 13
	s_delay_alu instid0(VALU_DEP_4) | instskip(SKIP_1) | instid1(VALU_DEP_4)
	v_and_b32_e32 v8, 0xffff, v8
	v_mul_f64 v[5:6], v[5:6], s[10:11]
	v_and_or_b32 v23, 0x8000, v16, v15
	v_add_co_u32 v15, vcc_lo, v20, s8
	v_add_co_ci_u32_e32 v16, vcc_lo, s9, v21, vcc_lo
	v_cmp_ne_u32_e32 vcc_lo, 0, v17
	s_delay_alu instid0(VALU_DEP_4)
	v_lshl_or_b32 v8, v23, 16, v8
	v_lshrrev_b32_e32 v20, 8, v18
	v_lshrrev_b32_e32 v36, v22, v32
	;; [unrolled: 1-line block ×3, first 2 shown]
	v_cndmask_b32_e64 v17, 0, 1, vcc_lo
	v_cmp_ne_u32_e32 vcc_lo, 0, v11
	global_store_b32 v[15:16], v8, off
	v_sub_nc_u32_e32 v8, 0x3f1, v30
	v_lshlrev_b32_e32 v38, v22, v36
	v_and_or_b32 v28, 0xffe, v20, v17
	v_cndmask_b32_e64 v11, 0, 1, vcc_lo
	v_add_co_u32 v15, vcc_lo, v15, s12
	v_add_co_ci_u32_e32 v16, vcc_lo, s7, v16, vcc_lo
	v_lshrrev_b32_e32 v17, 8, v12
	v_bfe_u32 v20, v12, 20, 11
	v_med3_i32 v8, v8, 0, 13
	v_or_b32_e32 v39, 0x1000, v28
	v_cmp_ne_u32_e64 s1, v38, v32
	v_and_or_b32 v17, 0xffe, v17, v11
	v_sub_nc_u32_e32 v21, 0x3f1, v20
	v_add_nc_u32_e32 v30, 0xfffffc10, v30
	v_lshrrev_b32_e32 v40, v8, v39
	v_cndmask_b32_e64 v32, 0, 1, s1
	v_and_or_b32 v13, 0x1ff, v14, v13
	v_med3_i32 v11, v21, 0, 13
	v_or_b32_e32 v23, 0x1000, v17
	v_bfe_u32 v22, v14, 20, 11
	v_lshlrev_b32_e32 v43, v8, v40
	v_cmp_ne_u32_e32 vcc_lo, 0, v13
	v_lshrrev_b32_e32 v13, 8, v14
	v_lshrrev_b32_e32 v21, v11, v23
	v_sub_nc_u32_e32 v29, 0x3f1, v22
	v_cmp_gt_i32_e64 s1, 31, v24
	v_cndmask_b32_e64 v10, 0, 1, vcc_lo
	v_cmp_ne_u32_e32 vcc_lo, v34, v41
	v_add_nc_u32_e32 v41, 0xfffffc10, v25
	v_and_or_b32 v25, 0x1ff, v6, v5
	v_med3_i32 v42, v29, 0, 13
	v_and_or_b32 v5, 0xffe, v13, v10
	v_cndmask_b32_e64 v34, 0, 1, vcc_lo
	v_lshl_or_b32 v13, v41, 12, v3
	v_cmp_ne_u32_e32 vcc_lo, 0, v25
	v_lshlrev_b32_e32 v29, v11, v21
	v_add_nc_u32_e32 v20, 0xfffffc10, v20
	v_or_b32_e32 v10, v27, v34
	v_lshrrev_b32_e32 v34, 8, v6
	v_cndmask_b32_e64 v25, 0, 1, vcc_lo
	v_cmp_gt_i32_e32 vcc_lo, 1, v41
	v_or_b32_e32 v27, 0x1000, v5
	v_add_nc_u32_e32 v22, 0xfffffc10, v22
	v_lshrrev_b32_e32 v12, 16, v12
	v_and_or_b32 v8, 0xffe, v34, v25
	v_cndmask_b32_e32 v10, v13, v10, vcc_lo
	v_cmp_ne_u32_e32 vcc_lo, v37, v35
	v_lshl_or_b32 v35, v26, 12, v1
	v_lshrrev_b32_e32 v25, v42, v27
	v_lshrrev_b32_e32 v14, 16, v14
	v_and_b32_e32 v11, 7, v10
	v_cndmask_b32_e64 v34, 0, 1, vcc_lo
	v_bfe_u32 v13, v6, 20, 11
	v_lshlrev_b32_e32 v37, v42, v25
	v_or_b32_e32 v42, 0x1000, v8
	v_cmp_lt_i32_e32 vcc_lo, 5, v11
	v_cmp_eq_u32_e64 s0, 3, v11
	v_or_b32_e32 v31, v31, v34
	v_lshrrev_b32_e32 v34, 2, v10
	ds_load_2addr_b32 v[10:11], v146 offset0:8 offset1:251
	v_lshrrev_b32_e32 v6, 16, v6
	s_or_b32 vcc_lo, s0, vcc_lo
	v_add_co_ci_u32_e32 v34, vcc_lo, 0, v34, vcc_lo
	v_cmp_ne_u32_e32 vcc_lo, 0, v3
	v_cndmask_b32_e64 v3, 0, 1, vcc_lo
	v_cmp_gt_i32_e32 vcc_lo, 1, v26
	s_delay_alu instid0(VALU_DEP_2)
	v_lshl_or_b32 v3, v3, 9, 0x7c00
	v_cndmask_b32_e32 v31, v35, v31, vcc_lo
	v_cmp_gt_i32_e32 vcc_lo, 31, v41
	v_sub_nc_u32_e32 v35, 0x3f1, v13
	s_waitcnt lgkmcnt(0)
	v_lshrrev_b32_e32 v45, 16, v10
	v_add_nc_u32_e32 v13, 0xfffffc10, v13
	v_cndmask_b32_e32 v34, 0x7c00, v34, vcc_lo
	v_cmp_eq_u32_e32 vcc_lo, 0x40f, v41
	v_and_b32_e32 v41, 7, v31
	v_lshrrev_b32_e32 v31, 2, v31
	v_med3_i32 v35, v35, 0, 13
	v_cndmask_b32_e32 v34, v34, v3, vcc_lo
	s_delay_alu instid0(VALU_DEP_4)
	v_cmp_lt_i32_e32 vcc_lo, 5, v41
	v_cmp_eq_u32_e64 s0, 3, v41
	scratch_load_b32 v41, off, off offset:48 ; 4-byte Folded Reload
	v_cvt_f32_f16_e32 v3, v33
	v_mul_f16_e32 v33, v46, v45
	v_and_or_b32 v34, 0x8000, v44, v34
	s_or_b32 vcc_lo, s0, vcc_lo
	v_add_co_ci_u32_e32 v38, vcc_lo, 0, v31, vcc_lo
	v_cmp_ne_u32_e32 vcc_lo, 0, v1
	v_cvt_f64_f32_e32 v[3:4], v3
	v_or_b32_e32 v31, v36, v32
	v_lshl_or_b32 v32, v24, 12, v19
	v_cndmask_b32_e64 v1, 0, 1, vcc_lo
	v_cmp_gt_i32_e32 vcc_lo, 1, v24
	s_delay_alu instid0(VALU_DEP_2) | instskip(NEXT) | instid1(VALU_DEP_4)
	v_lshl_or_b32 v1, v1, 9, 0x7c00
	v_cndmask_b32_e32 v36, v32, v31, vcc_lo
	v_cmp_gt_i32_e32 vcc_lo, 31, v26
	s_waitcnt vmcnt(0)
	v_fmac_f16_e32 v33, v41, v10
	v_mul_f16_e32 v10, v46, v10
	s_delay_alu instid0(VALU_DEP_2) | instskip(NEXT) | instid1(VALU_DEP_2)
	v_cvt_f32_f16_e32 v33, v33
	v_fma_f16 v10, v41, v45, -v10
	s_delay_alu instid0(VALU_DEP_2)
	v_cvt_f64_f32_e32 v[31:32], v33
	v_cndmask_b32_e32 v33, 0x7c00, v38, vcc_lo
	v_cmp_ne_u32_e32 vcc_lo, v43, v39
	v_lshrrev_b32_e32 v39, v35, v42
	v_cndmask_b32_e64 v38, 0, 1, vcc_lo
	v_cmp_eq_u32_e32 vcc_lo, 0x40f, v26
	s_delay_alu instid0(VALU_DEP_2) | instskip(SKIP_4) | instid1(VALU_DEP_4)
	v_or_b32_e32 v26, v40, v38
	v_cndmask_b32_e32 v1, v33, v1, vcc_lo
	v_lshl_or_b32 v33, v30, 12, v28
	v_and_b32_e32 v38, 7, v36
	v_cmp_gt_i32_e32 vcc_lo, 1, v30
	v_and_or_b32 v1, 0x8000, v2, v1
	v_lshrrev_b32_e32 v2, 2, v36
	s_delay_alu instid0(VALU_DEP_4) | instskip(SKIP_4) | instid1(VALU_DEP_4)
	v_cmp_eq_u32_e64 s0, 3, v38
	v_cndmask_b32_e32 v26, v33, v26, vcc_lo
	v_cmp_lt_i32_e32 vcc_lo, 5, v38
	v_and_b32_e32 v36, 0xffff, v34
	v_mul_f64 v[33:34], v[3:4], s[10:11]
	v_and_b32_e32 v38, 7, v26
	s_or_b32 vcc_lo, s0, vcc_lo
	s_delay_alu instid0(VALU_DEP_3) | instskip(SKIP_1) | instid1(VALU_DEP_3)
	v_lshl_or_b32 v1, v1, 16, v36
	v_add_co_ci_u32_e32 v2, vcc_lo, 0, v2, vcc_lo
	v_cmp_lt_i32_e32 vcc_lo, 5, v38
	v_cmp_eq_u32_e64 s0, 3, v38
	global_store_b32 v[15:16], v1, off
	v_cndmask_b32_e64 v4, 0x7c00, v2, s1
	v_lshrrev_b32_e32 v2, 2, v26
	v_cmp_ne_u32_e64 s1, 0, v19
	s_or_b32 vcc_lo, s0, vcc_lo
	scratch_load_b32 v38, off, off offset:32 ; 4-byte Folded Reload
	v_add_co_ci_u32_e32 v26, vcc_lo, 0, v2, vcc_lo
	v_mul_f64 v[2:3], v[31:32], s[10:11]
	s_clause 0x1
	scratch_load_b32 v31, off, off offset:44
	scratch_load_b32 v32, off, off offset:40
	v_cmp_ne_u32_e32 vcc_lo, 0, v28
	v_cndmask_b32_e64 v19, 0, 1, s1
	v_cndmask_b32_e64 v28, 0, 1, vcc_lo
	v_cmp_gt_i32_e32 vcc_lo, 31, v30
	s_delay_alu instid0(VALU_DEP_3) | instskip(NEXT) | instid1(VALU_DEP_3)
	v_lshl_or_b32 v19, v19, 9, 0x7c00
	v_lshl_or_b32 v28, v28, 9, 0x7c00
	v_cndmask_b32_e32 v26, 0x7c00, v26, vcc_lo
	v_cmp_eq_u32_e32 vcc_lo, 0x40f, v24
	v_lshlrev_b32_e32 v24, v35, v39
	v_cndmask_b32_e32 v4, v4, v19, vcc_lo
	v_cmp_eq_u32_e32 vcc_lo, 0x40f, v30
	v_lshrrev_b32_e32 v30, 8, v34
	s_delay_alu instid0(VALU_DEP_3) | instskip(SKIP_3) | instid1(VALU_DEP_4)
	v_and_or_b32 v4, 0x8000, v7, v4
	v_cndmask_b32_e32 v19, v26, v28, vcc_lo
	v_lshrrev_b32_e32 v7, 16, v9
	v_add_co_u32 v15, vcc_lo, v15, s12
	v_and_b32_e32 v4, 0xffff, v4
	s_delay_alu instid0(VALU_DEP_4) | instskip(SKIP_3) | instid1(VALU_DEP_4)
	v_and_or_b32 v1, 0x8000, v18, v19
	v_and_or_b32 v19, 0x1ff, v34, v33
	v_add_co_ci_u32_e32 v16, vcc_lo, s7, v16, vcc_lo
	v_bfe_u32 v26, v34, 20, 11
	v_lshl_or_b32 v1, v1, 16, v4
	v_cvt_f32_f16_e32 v4, v10
	v_cmp_ne_u32_e32 vcc_lo, 0, v19
	v_and_or_b32 v2, 0x1ff, v3, v2
	v_lshl_or_b32 v33, v13, 12, v8
	global_store_b32 v[15:16], v1, off
	v_cndmask_b32_e64 v28, 0, 1, vcc_lo
	v_cmp_ne_u32_e32 vcc_lo, 0, v2
	s_delay_alu instid0(VALU_DEP_2)
	v_and_or_b32 v28, 0xffe, v30, v28
	v_lshrrev_b32_e32 v30, 8, v3
	s_waitcnt vmcnt(1)
	v_mul_f16_e32 v18, v31, v7
	v_mul_f16_e32 v31, v31, v9
	s_waitcnt vmcnt(0)
	s_delay_alu instid0(VALU_DEP_2) | instskip(NEXT) | instid1(VALU_DEP_2)
	v_fmac_f16_e32 v18, v32, v9
	v_fma_f16 v1, v32, v7, -v31
	v_cndmask_b32_e64 v7, 0, 1, vcc_lo
	v_cmp_ne_u32_e32 vcc_lo, v29, v23
	v_or_b32_e32 v31, 0x1000, v28
	v_cvt_f32_f16_e32 v10, v18
	v_cvt_f64_f32_e32 v[18:19], v4
	v_and_or_b32 v30, 0xffe, v30, v7
	v_cndmask_b32_e64 v2, 0, 1, vcc_lo
	v_cmp_ne_u32_e32 vcc_lo, v37, v27
	v_cvt_f64_f32_e32 v[9:10], v10
	v_bfe_u32 v27, v3, 20, 11
	v_cvt_f32_f16_e32 v1, v1
	v_or_b32_e32 v2, v21, v2
	v_cndmask_b32_e64 v23, 0, 1, vcc_lo
	v_lshl_or_b32 v21, v20, 12, v17
	v_cmp_gt_i32_e32 vcc_lo, 1, v20
	v_sub_nc_u32_e32 v29, 0x3f1, v27
	v_sub_nc_u32_e32 v4, 0x3f1, v26
	v_or_b32_e32 v23, v25, v23
	v_lshl_or_b32 v25, v22, 12, v5
	v_cndmask_b32_e32 v21, v21, v2, vcc_lo
	v_cmp_gt_i32_e32 vcc_lo, 1, v22
	v_med3_i32 v7, v29, 0, 13
	v_cvt_f64_f32_e32 v[1:2], v1
	v_med3_i32 v4, v4, 0, 13
	v_lshrrev_b32_e32 v3, 16, v3
	v_cndmask_b32_e32 v23, v25, v23, vcc_lo
	v_and_b32_e32 v25, 7, v21
	v_lshrrev_b32_e32 v21, 2, v21
	s_delay_alu instid0(VALU_DEP_3) | instskip(NEXT) | instid1(VALU_DEP_3)
	v_and_b32_e32 v29, 7, v23
	v_cmp_lt_i32_e32 vcc_lo, 5, v25
	v_cmp_eq_u32_e64 s0, 3, v25
	v_lshrrev_b32_e32 v23, 2, v23
	v_or_b32_e32 v25, 0x1000, v30
	v_cmp_lt_i32_e64 s1, 5, v29
	v_cmp_eq_u32_e64 s2, 3, v29
	s_or_b32 vcc_lo, s0, vcc_lo
	v_add_co_ci_u32_e32 v21, vcc_lo, 0, v21, vcc_lo
	v_cmp_ne_u32_e32 vcc_lo, 0, v17
	v_mul_f64 v[18:19], v[18:19], s[10:11]
	v_mul_f64 v[9:10], v[9:10], s[10:11]
	v_cndmask_b32_e64 v17, 0, 1, vcc_lo
	s_or_b32 vcc_lo, s2, s1
	v_add_co_ci_u32_e32 v23, vcc_lo, 0, v23, vcc_lo
	v_cmp_ne_u32_e32 vcc_lo, 0, v5
	s_delay_alu instid0(VALU_DEP_3) | instskip(SKIP_2) | instid1(VALU_DEP_2)
	v_lshl_or_b32 v17, v17, 9, 0x7c00
	v_cndmask_b32_e64 v5, 0, 1, vcc_lo
	v_cmp_gt_i32_e32 vcc_lo, 31, v20
	v_lshl_or_b32 v5, v5, 9, 0x7c00
	v_cndmask_b32_e32 v21, 0x7c00, v21, vcc_lo
	v_cmp_gt_i32_e32 vcc_lo, 31, v22
	v_cndmask_b32_e32 v23, 0x7c00, v23, vcc_lo
	v_cmp_eq_u32_e32 vcc_lo, 0x40f, v20
	s_delay_alu instid0(VALU_DEP_4) | instskip(SKIP_3) | instid1(VALU_DEP_4)
	v_cndmask_b32_e32 v17, v21, v17, vcc_lo
	v_cmp_eq_u32_e32 vcc_lo, 0x40f, v22
	v_mul_f64 v[20:21], v[1:2], s[10:11]
	v_lshrrev_b32_e32 v22, v7, v25
	v_and_or_b32 v12, 0x8000, v12, v17
	v_cndmask_b32_e32 v5, v23, v5, vcc_lo
	v_lshrrev_b32_e32 v17, v4, v31
	v_add_co_u32 v1, vcc_lo, v15, s8
	s_delay_alu instid0(VALU_DEP_4) | instskip(NEXT) | instid1(VALU_DEP_4)
	v_and_b32_e32 v12, 0xffff, v12
	v_and_or_b32 v5, 0x8000, v14, v5
	v_and_or_b32 v14, 0x1ff, v19, v18
	v_add_co_ci_u32_e32 v2, vcc_lo, s9, v16, vcc_lo
	v_lshlrev_b32_e32 v15, v4, v17
	s_delay_alu instid0(VALU_DEP_4)
	v_lshl_or_b32 v4, v5, 16, v12
	v_and_or_b32 v5, 0x1ff, v10, v9
	v_cmp_ne_u32_e32 vcc_lo, 0, v14
	v_lshrrev_b32_e32 v16, 8, v10
	v_lshrrev_b32_e32 v12, 8, v19
	global_store_b32 v[1:2], v4, off
	v_bfe_u32 v14, v19, 20, 11
	v_cndmask_b32_e64 v9, 0, 1, vcc_lo
	v_cmp_ne_u32_e32 vcc_lo, 0, v5
	v_bfe_u32 v18, v10, 20, 11
	v_lshlrev_b32_e32 v7, v7, v22
	s_delay_alu instid0(VALU_DEP_4) | instskip(SKIP_4) | instid1(VALU_DEP_4)
	v_and_or_b32 v12, 0xffe, v12, v9
	v_cndmask_b32_e64 v5, 0, 1, vcc_lo
	v_add_co_u32 v4, vcc_lo, v1, s12
	v_sub_nc_u32_e32 v9, 0x3f1, v14
	v_sub_nc_u32_e32 v23, 0x3f1, v18
	v_and_or_b32 v16, 0xffe, v16, v5
	v_add_co_ci_u32_e32 v5, vcc_lo, s7, v2, vcc_lo
	v_cmp_ne_u32_e32 vcc_lo, v24, v42
	v_med3_i32 v1, v9, 0, 13
	v_or_b32_e32 v9, 0x1000, v12
	v_and_or_b32 v20, 0x1ff, v21, v20
	v_med3_i32 v2, v23, 0, 13
	v_cndmask_b32_e64 v24, 0, 1, vcc_lo
	v_or_b32_e32 v23, 0x1000, v16
	v_lshrrev_b32_e32 v29, v1, v9
	v_cmp_ne_u32_e32 vcc_lo, 0, v20
	v_add_nc_u32_e32 v14, 0xfffffc10, v14
	v_or_b32_e32 v24, v39, v24
	scratch_load_b32 v39, off, off offset:36 ; 4-byte Folded Reload
	v_lshrrev_b32_e32 v32, v2, v23
	v_cndmask_b32_e64 v20, 0, 1, vcc_lo
	v_cmp_gt_i32_e32 vcc_lo, 1, v13
	v_lshrrev_b32_e32 v35, 8, v21
	v_add_nc_u32_e32 v18, 0xfffffc10, v18
	v_lshlrev_b32_e32 v36, v2, v32
	v_cndmask_b32_e32 v24, v33, v24, vcc_lo
	v_cmp_ne_u32_e32 vcc_lo, v15, v31
	v_lshlrev_b32_e32 v33, v1, v29
	v_add_nc_u32_e32 v15, 0xfffffc10, v26
	v_and_or_b32 v20, 0xffe, v35, v20
	v_and_b32_e32 v1, 7, v24
	v_cndmask_b32_e64 v2, 0, 1, vcc_lo
	v_lshrrev_b32_e32 v24, 2, v24
	v_lshl_or_b32 v31, v15, 12, v28
	v_cmp_gt_i32_e64 s1, 1, v15
	v_cmp_lt_i32_e32 vcc_lo, 5, v1
	v_cmp_eq_u32_e64 s0, 3, v1
	v_or_b32_e32 v17, v17, v2
	ds_load_2addr_b32 v[1:2], v171 offset1:243
	v_bfe_u32 v35, v21, 20, 11
	v_or_b32_e32 v37, 0x1000, v20
	s_or_b32 vcc_lo, s0, vcc_lo
	v_cndmask_b32_e64 v17, v31, v17, s1
	v_add_co_ci_u32_e32 v24, vcc_lo, 0, v24, vcc_lo
	v_cmp_ne_u32_e32 vcc_lo, 0, v8
	v_cmp_eq_u32_e64 s1, 0x40f, v13
	s_delay_alu instid0(VALU_DEP_4)
	v_and_b32_e32 v31, 7, v17
	v_lshrrev_b32_e32 v17, 2, v17
	v_sub_nc_u32_e32 v26, 0x3f1, v35
	v_cndmask_b32_e64 v8, 0, 1, vcc_lo
	v_cmp_gt_i32_e32 vcc_lo, 31, v13
	v_cmp_eq_u32_e64 s0, 3, v31
	v_lshrrev_b32_e32 v21, 16, v21
	v_med3_i32 v26, v26, 0, 13
	v_lshl_or_b32 v8, v8, 9, 0x7c00
	v_cndmask_b32_e32 v24, 0x7c00, v24, vcc_lo
	v_cmp_lt_i32_e32 vcc_lo, 5, v31
	s_waitcnt lgkmcnt(0)
	v_lshrrev_b32_e32 v13, 16, v1
	v_lshrrev_b32_e32 v31, v26, v37
	v_cndmask_b32_e64 v8, v24, v8, s1
	s_or_b32 vcc_lo, s0, vcc_lo
	v_add_co_ci_u32_e32 v17, vcc_lo, 0, v17, vcc_lo
	v_cmp_ne_u32_e32 vcc_lo, 0, v28
	s_delay_alu instid0(VALU_DEP_3) | instskip(SKIP_2) | instid1(VALU_DEP_3)
	v_and_or_b32 v8, 0x8000, v6, v8
	v_cndmask_b32_e64 v24, 0, 1, vcc_lo
	v_cmp_gt_i32_e32 vcc_lo, 31, v15
	v_and_b32_e32 v8, 0xffff, v8
	s_delay_alu instid0(VALU_DEP_3) | instskip(SKIP_2) | instid1(VALU_DEP_2)
	v_lshl_or_b32 v24, v24, 9, 0x7c00
	v_cndmask_b32_e32 v17, 0x7c00, v17, vcc_lo
	v_cmp_eq_u32_e32 vcc_lo, 0x40f, v15
	v_cndmask_b32_e32 v15, v17, v24, vcc_lo
	v_cmp_ne_u32_e32 vcc_lo, v7, v25
	v_add_nc_u32_e32 v24, 0xfffffc10, v27
	v_lshl_or_b32 v27, v14, 12, v12
	v_lshrrev_b32_e32 v25, 16, v34
	v_cndmask_b32_e64 v17, 0, 1, vcc_lo
	v_cmp_ne_u32_e32 vcc_lo, v33, v9
	s_delay_alu instid0(VALU_DEP_3) | instskip(SKIP_1) | instid1(VALU_DEP_4)
	v_and_or_b32 v15, 0x8000, v25, v15
	v_lshlrev_b32_e32 v25, v26, v31
	v_or_b32_e32 v17, v22, v17
	v_cndmask_b32_e64 v9, 0, 1, vcc_lo
	v_lshl_or_b32 v22, v24, 12, v30
	v_cmp_gt_i32_e32 vcc_lo, 1, v24
	v_lshl_or_b32 v15, v15, 16, v8
	s_delay_alu instid0(VALU_DEP_4) | instskip(NEXT) | instid1(VALU_DEP_4)
	v_or_b32_e32 v9, v29, v9
	v_cndmask_b32_e32 v17, v22, v17, vcc_lo
	v_cmp_gt_i32_e32 vcc_lo, 1, v14
	global_store_b32 v[4:5], v15, off
	v_add_nc_u32_e32 v15, 0xfffffc10, v35
	v_lshrrev_b32_e32 v8, 2, v17
	v_cndmask_b32_e32 v22, v27, v9, vcc_lo
	v_and_b32_e32 v9, 7, v17
	scratch_load_b32 v27, off, off offset:20 ; 4-byte Folded Reload
	v_and_b32_e32 v26, 7, v22
	v_cmp_lt_i32_e32 vcc_lo, 5, v9
	v_cmp_eq_u32_e64 s0, 3, v9
	v_lshrrev_b32_e32 v22, 2, v22
	s_delay_alu instid0(VALU_DEP_4) | instskip(SKIP_1) | instid1(VALU_DEP_4)
	v_cmp_lt_i32_e64 s1, 5, v26
	v_cmp_eq_u32_e64 s2, 3, v26
	s_or_b32 vcc_lo, s0, vcc_lo
	v_cmp_ne_u32_e64 s0, v25, v37
	s_clause 0x1
	scratch_load_b32 v25, off, off offset:24
	scratch_load_b32 v26, off, off offset:16
	s_waitcnt vmcnt(3)
	v_mul_f16_e32 v28, v39, v13
	s_delay_alu instid0(VALU_DEP_1) | instskip(SKIP_1) | instid1(VALU_DEP_2)
	v_fmac_f16_e32 v28, v38, v1
	v_mul_f16_e32 v1, v39, v1
	v_cvt_f32_f16_e32 v6, v28
	s_delay_alu instid0(VALU_DEP_2) | instskip(SKIP_2) | instid1(VALU_DEP_4)
	v_fma_f16 v1, v38, v13, -v1
	v_add_co_ci_u32_e32 v13, vcc_lo, 0, v8, vcc_lo
	v_cmp_ne_u32_e32 vcc_lo, 0, v30
	v_cvt_f64_f32_e32 v[6:7], v6
	s_delay_alu instid0(VALU_DEP_4) | instskip(SKIP_2) | instid1(VALU_DEP_3)
	v_cvt_f32_f16_e32 v1, v1
	v_cndmask_b32_e64 v17, 0, 1, vcc_lo
	v_cmp_gt_i32_e32 vcc_lo, 31, v24
	v_cvt_f64_f32_e32 v[8:9], v1
	s_delay_alu instid0(VALU_DEP_3)
	v_lshl_or_b32 v17, v17, 9, 0x7c00
	v_cndmask_b32_e32 v1, 0x7c00, v13, vcc_lo
	v_cmp_ne_u32_e32 vcc_lo, v36, v23
	v_lshl_or_b32 v23, v18, 12, v16
	v_cndmask_b32_e64 v13, 0, 1, vcc_lo
	s_or_b32 vcc_lo, s2, s1
	v_cmp_eq_u32_e64 s1, 0x40f, v18
	v_add_co_ci_u32_e32 v22, vcc_lo, 0, v22, vcc_lo
	v_cmp_ne_u32_e32 vcc_lo, 0, v12
	v_or_b32_e32 v13, v32, v13
	v_cndmask_b32_e64 v12, 0, 1, vcc_lo
	v_cmp_gt_i32_e32 vcc_lo, 1, v18
	s_delay_alu instid0(VALU_DEP_2) | instskip(NEXT) | instid1(VALU_DEP_4)
	v_lshl_or_b32 v12, v12, 9, 0x7c00
	v_cndmask_b32_e32 v13, v23, v13, vcc_lo
	v_cmp_gt_i32_e32 vcc_lo, 31, v14
	v_cndmask_b32_e32 v22, 0x7c00, v22, vcc_lo
	v_cmp_eq_u32_e32 vcc_lo, 0x40f, v24
	scratch_load_b32 v24, off, off offset:28 ; 4-byte Folded Reload
	v_mul_f64 v[6:7], v[6:7], s[10:11]
	v_cndmask_b32_e32 v1, v1, v17, vcc_lo
	v_cmp_eq_u32_e32 vcc_lo, 0x40f, v14
	v_and_b32_e32 v17, 7, v13
	v_lshrrev_b32_e32 v14, 16, v19
	v_mul_f64 v[8:9], v[8:9], s[10:11]
	v_and_or_b32 v1, 0x8000, v3, v1
	v_cndmask_b32_e32 v12, v22, v12, vcc_lo
	v_cmp_lt_i32_e32 vcc_lo, 5, v17
	v_cndmask_b32_e64 v3, 0, 1, s0
	v_cmp_eq_u32_e64 s0, 3, v17
	v_lshrrev_b32_e32 v17, 16, v11
	v_and_or_b32 v14, 0x8000, v14, v12
	v_lshrrev_b32_e32 v12, 2, v13
	v_or_b32_e32 v3, v31, v3
	s_or_b32 vcc_lo, s0, vcc_lo
	v_lshl_or_b32 v13, v15, 12, v20
	v_and_b32_e32 v1, 0xffff, v1
	v_add_co_ci_u32_e32 v12, vcc_lo, 0, v12, vcc_lo
	v_cmp_gt_i32_e32 vcc_lo, 1, v15
	s_delay_alu instid0(VALU_DEP_3) | instskip(SKIP_2) | instid1(VALU_DEP_2)
	v_lshl_or_b32 v1, v14, 16, v1
	v_cndmask_b32_e32 v3, v13, v3, vcc_lo
	v_cmp_ne_u32_e32 vcc_lo, 0, v16
	v_and_b32_e32 v19, 7, v3
	v_cndmask_b32_e64 v16, 0, 1, vcc_lo
	v_cmp_gt_i32_e32 vcc_lo, 31, v18
	v_lshrrev_b32_e32 v3, 2, v3
	s_delay_alu instid0(VALU_DEP_4)
	v_cmp_eq_u32_e64 s0, 3, v19
	v_and_or_b32 v6, 0x1ff, v7, v6
	v_cndmask_b32_e32 v22, 0x7c00, v12, vcc_lo
	v_lshrrev_b32_e32 v12, 8, v7
	v_bfe_u32 v23, v7, 20, 11
	v_lshl_or_b32 v16, v16, 9, 0x7c00
	v_cmp_ne_u32_e32 vcc_lo, 0, v6
	v_lshrrev_b32_e32 v7, 16, v7
	v_and_or_b32 v8, 0x1ff, v9, v8
	s_delay_alu instid0(VALU_DEP_4) | instskip(SKIP_3) | instid1(VALU_DEP_3)
	v_cndmask_b32_e64 v16, v22, v16, s1
	v_cndmask_b32_e64 v6, 0, 1, vcc_lo
	v_cmp_lt_i32_e32 vcc_lo, 5, v19
	v_lshrrev_b32_e32 v22, 16, v10
	v_and_or_b32 v19, 0xffe, v12, v6
	v_sub_nc_u32_e32 v6, 0x3f1, v23
	s_or_b32 vcc_lo, s0, vcc_lo
	s_delay_alu instid0(VALU_DEP_3)
	v_and_or_b32 v16, 0x8000, v22, v16
	v_add_co_ci_u32_e32 v3, vcc_lo, 0, v3, vcc_lo
	v_or_b32_e32 v18, 0x1000, v19
	v_med3_i32 v6, v6, 0, 13
	v_cmp_ne_u32_e32 vcc_lo, 0, v20
	v_lshrrev_b32_e32 v20, 8, v9
	v_and_b32_e32 v16, 0xffff, v16
	s_waitcnt vmcnt(0)
	v_mul_f16_e32 v13, v24, v17
	v_mul_f16_e32 v10, v24, v11
	v_lshrrev_b32_e32 v24, v6, v18
	s_delay_alu instid0(VALU_DEP_3) | instskip(SKIP_2) | instid1(VALU_DEP_4)
	v_fmac_f16_e32 v13, v25, v11
	v_cndmask_b32_e64 v11, 0, 1, vcc_lo
	v_cmp_gt_i32_e32 vcc_lo, 31, v15
	v_lshlrev_b32_e32 v6, v6, v24
	v_fma_f16 v10, v25, v17, -v10
	v_bfe_u32 v25, v9, 20, 11
	v_lshl_or_b32 v17, v11, 9, 0x7c00
	v_cndmask_b32_e32 v3, 0x7c00, v3, vcc_lo
	v_cmp_ne_u32_e32 vcc_lo, 0, v8
	v_cvt_f32_f16_e32 v13, v13
	v_cvt_f32_f16_e32 v10, v10
	v_lshrrev_b32_e32 v9, 16, v9
	v_cndmask_b32_e64 v8, 0, 1, vcc_lo
	v_cmp_ne_u32_e32 vcc_lo, v6, v18
	v_add_nc_u32_e32 v18, 0xfffffc10, v23
	v_lshrrev_b32_e32 v23, 16, v0
	v_cvt_f64_f32_e32 v[12:13], v13
	v_and_or_b32 v8, 0xffe, v20, v8
	v_cndmask_b32_e64 v6, 0, 1, vcc_lo
	v_sub_nc_u32_e32 v20, 0x3f1, v25
	v_cmp_eq_u32_e32 vcc_lo, 0x40f, v15
	v_cvt_f64_f32_e32 v[10:11], v10
	v_cmp_eq_u32_e64 s1, 0x40f, v18
	v_or_b32_e32 v6, v24, v6
	v_med3_i32 v15, v20, 0, 13
	v_cndmask_b32_e32 v3, v3, v17, vcc_lo
	v_lshl_or_b32 v20, v18, 12, v19
	v_cmp_gt_i32_e32 vcc_lo, 1, v18
	v_or_b32_e32 v17, 0x1000, v8
	s_delay_alu instid0(VALU_DEP_4) | instskip(NEXT) | instid1(VALU_DEP_4)
	v_and_or_b32 v3, 0x8000, v21, v3
	v_cndmask_b32_e32 v6, v20, v6, vcc_lo
	v_add_co_u32 v14, vcc_lo, v4, s12
	v_mul_f16_e32 v4, v27, v23
	v_lshrrev_b32_e32 v22, v15, v17
	s_delay_alu instid0(VALU_DEP_4) | instskip(SKIP_1) | instid1(VALU_DEP_4)
	v_and_b32_e32 v21, 7, v6
	v_lshl_or_b32 v16, v3, 16, v16
	v_fmac_f16_e32 v4, v26, v0
	v_mul_f16_e32 v0, v27, v0
	scratch_load_b32 v27, off, off offset:12 ; 4-byte Folded Reload
	v_lshlrev_b32_e32 v20, v15, v22
	v_add_co_ci_u32_e32 v15, vcc_lo, s7, v5, vcc_lo
	v_fma_f16 v0, v26, v23, -v0
	scratch_load_b32 v26, off, off offset:8 ; 4-byte Folded Reload
	v_cmp_ne_u32_e64 s0, v20, v17
	v_cmp_lt_i32_e32 vcc_lo, 5, v21
	v_lshrrev_b32_e32 v20, 2, v6
	v_add_nc_u32_e32 v17, 0xfffffc10, v25
	v_cvt_f32_f16_e32 v4, v4
	v_cndmask_b32_e64 v5, 0, 1, s0
	v_mul_f64 v[12:13], v[12:13], s[10:11]
	v_cmp_eq_u32_e64 s0, 3, v21
	v_cvt_f32_f16_e32 v0, v0
	global_store_b32 v[14:15], v1, off
	v_or_b32_e32 v21, v22, v5
	v_mul_f64 v[5:6], v[10:11], s[10:11]
	s_or_b32 vcc_lo, s0, vcc_lo
	v_lshl_or_b32 v22, v17, 12, v8
	v_add_co_ci_u32_e32 v20, vcc_lo, 0, v20, vcc_lo
	v_cmp_ne_u32_e32 vcc_lo, 0, v19
	v_cvt_f64_f32_e32 v[10:11], v4
	v_cndmask_b32_e64 v19, 0, 1, vcc_lo
	v_cmp_gt_i32_e32 vcc_lo, 1, v17
	s_delay_alu instid0(VALU_DEP_2) | instskip(SKIP_2) | instid1(VALU_DEP_2)
	v_lshl_or_b32 v19, v19, 9, 0x7c00
	v_cndmask_b32_e32 v21, v22, v21, vcc_lo
	v_cmp_gt_i32_e32 vcc_lo, 31, v18
	v_and_b32_e32 v22, 7, v21
	v_cndmask_b32_e32 v20, 0x7c00, v20, vcc_lo
	v_add_co_u32 v3, vcc_lo, v14, s8
	v_add_co_ci_u32_e32 v4, vcc_lo, s9, v15, vcc_lo
	s_delay_alu instid0(VALU_DEP_4) | instskip(NEXT) | instid1(VALU_DEP_4)
	v_cmp_lt_i32_e32 vcc_lo, 5, v22
	v_cndmask_b32_e64 v18, v20, v19, s1
	v_lshrrev_b32_e32 v19, 2, v21
	global_store_b32 v[3:4], v16, off
	v_and_or_b32 v12, 0x1ff, v13, v12
	v_lshrrev_b32_e32 v24, 8, v13
	v_bfe_u32 v25, v13, 20, 11
	v_and_or_b32 v18, 0x8000, v7, v18
	v_lshrrev_b32_e32 v13, 16, v13
	v_cmp_ne_u32_e64 s0, 0, v12
	v_and_or_b32 v5, 0x1ff, v6, v5
	v_sub_nc_u32_e32 v20, 0x3f1, v25
	v_bfe_u32 v23, v6, 20, 11
	s_delay_alu instid0(VALU_DEP_4) | instskip(SKIP_1) | instid1(VALU_DEP_4)
	v_cndmask_b32_e64 v12, 0, 1, s0
	v_cmp_eq_u32_e64 s0, 3, v22
	v_med3_i32 v20, v20, 0, 13
	s_delay_alu instid0(VALU_DEP_3) | instskip(NEXT) | instid1(VALU_DEP_3)
	v_and_or_b32 v12, 0xffe, v24, v12
	s_or_b32 vcc_lo, s0, vcc_lo
	v_add_co_ci_u32_e32 v19, vcc_lo, 0, v19, vcc_lo
	v_cmp_ne_u32_e32 vcc_lo, 0, v8
	s_delay_alu instid0(VALU_DEP_3) | instskip(SKIP_2) | instid1(VALU_DEP_3)
	v_or_b32_e32 v21, 0x1000, v12
	v_cndmask_b32_e64 v8, 0, 1, vcc_lo
	v_cmp_gt_i32_e32 vcc_lo, 31, v17
	v_lshrrev_b32_e32 v22, v20, v21
	s_delay_alu instid0(VALU_DEP_3) | instskip(SKIP_2) | instid1(VALU_DEP_4)
	v_lshl_or_b32 v24, v8, 9, 0x7c00
	v_cndmask_b32_e32 v19, 0x7c00, v19, vcc_lo
	v_cmp_ne_u32_e32 vcc_lo, 0, v5
	v_lshlrev_b32_e32 v20, v20, v22
	v_mul_f64 v[7:8], v[10:11], s[10:11]
	v_lshrrev_b32_e32 v10, 8, v6
	v_lshrrev_b32_e32 v6, 16, v6
	v_cndmask_b32_e64 v5, 0, 1, vcc_lo
	v_cmp_eq_u32_e32 vcc_lo, 0x40f, v17
	s_delay_alu instid0(VALU_DEP_2)
	v_and_or_b32 v5, 0xffe, v10, v5
	v_cndmask_b32_e32 v17, v19, v24, vcc_lo
	v_cmp_ne_u32_e32 vcc_lo, v20, v21
	v_cvt_f64_f32_e32 v[10:11], v0
	v_add_nc_u32_e32 v19, 0xfffffc10, v25
	v_lshrrev_b32_e32 v24, 16, v2
	v_and_or_b32 v9, 0x8000, v9, v17
	v_cndmask_b32_e64 v0, 0, 1, vcc_lo
	v_sub_nc_u32_e32 v20, 0x3f1, v23
	v_cmp_gt_i32_e32 vcc_lo, 1, v19
	v_or_b32_e32 v21, 0x1000, v5
	s_delay_alu instid0(VALU_DEP_4) | instskip(SKIP_2) | instid1(VALU_DEP_2)
	v_or_b32_e32 v0, v22, v0
	v_lshl_or_b32 v22, v19, 12, v12
	v_med3_i32 v20, v20, 0, 13
	v_dual_cndmask_b32 v17, v22, v0 :: v_dual_and_b32 v0, 0xffff, v18
	v_add_nc_u32_e32 v18, 0xfffffc10, v23
	scratch_load_b32 v23, off, off offset:4 ; 4-byte Folded Reload
	v_lshrrev_b32_e32 v25, v20, v21
	v_and_b32_e32 v1, 7, v17
	v_lshl_or_b32 v0, v9, 16, v0
	s_delay_alu instid0(VALU_DEP_3) | instskip(NEXT) | instid1(VALU_DEP_3)
	v_lshlrev_b32_e32 v14, v20, v25
	v_cmp_lt_i32_e32 vcc_lo, 5, v1
	v_and_or_b32 v7, 0x1ff, v8, v7
	v_lshrrev_b32_e32 v20, 8, v8
	s_delay_alu instid0(VALU_DEP_4) | instskip(SKIP_1) | instid1(VALU_DEP_4)
	v_cmp_ne_u32_e64 s0, v14, v21
	v_bfe_u32 v21, v8, 20, 11
	v_cmp_ne_u32_e64 s1, 0, v7
	s_delay_alu instid0(VALU_DEP_3)
	v_cndmask_b32_e64 v16, 0, 1, s0
	v_cmp_eq_u32_e64 s0, 3, v1
	v_lshrrev_b32_e32 v1, 2, v17
	v_lshl_or_b32 v17, v18, 12, v5
	v_cndmask_b32_e64 v7, 0, 1, s1
	v_or_b32_e32 v16, v25, v16
	v_cmp_gt_i32_e64 s1, 1, v18
	s_or_b32 vcc_lo, s0, vcc_lo
	v_add_co_ci_u32_e32 v1, vcc_lo, 0, v1, vcc_lo
	v_cmp_ne_u32_e32 vcc_lo, 0, v12
	v_and_or_b32 v7, 0xffe, v20, v7
	v_cndmask_b32_e64 v12, 0, 1, vcc_lo
	s_delay_alu instid0(VALU_DEP_2) | instskip(NEXT) | instid1(VALU_DEP_2)
	v_or_b32_e32 v20, 0x1000, v7
	v_lshl_or_b32 v12, v12, 9, 0x7c00
	s_waitcnt vmcnt(2)
	v_mul_f16_e32 v22, v27, v24
	s_waitcnt vmcnt(1)
	s_delay_alu instid0(VALU_DEP_1) | instskip(SKIP_1) | instid1(VALU_DEP_2)
	v_fmac_f16_e32 v22, v26, v2
	v_mul_f16_e32 v2, v27, v2
	v_cvt_f32_f16_e32 v9, v22
	s_delay_alu instid0(VALU_DEP_2)
	v_fma_f16 v2, v26, v24, -v2
	scratch_load_b32 v24, off, off          ; 4-byte Folded Reload
	v_cvt_f64_f32_e32 v[14:15], v9
	v_mul_f64 v[9:10], v[10:11], s[10:11]
	v_cndmask_b32_e64 v11, v17, v16, s1
	v_sub_nc_u32_e32 v16, 0x3f1, v21
	v_cmp_gt_i32_e64 s1, 31, v19
	s_delay_alu instid0(VALU_DEP_3) | instskip(SKIP_1) | instid1(VALU_DEP_4)
	v_and_b32_e32 v17, 7, v11
	v_lshrrev_b32_e32 v11, 2, v11
	v_med3_i32 v16, v16, 0, 13
	s_delay_alu instid0(VALU_DEP_4) | instskip(NEXT) | instid1(VALU_DEP_4)
	v_cndmask_b32_e64 v1, 0x7c00, v1, s1
	v_cmp_lt_i32_e32 vcc_lo, 5, v17
	v_cmp_eq_u32_e64 s0, 3, v17
	s_delay_alu instid0(VALU_DEP_4) | instskip(NEXT) | instid1(VALU_DEP_2)
	v_lshrrev_b32_e32 v17, v16, v20
	s_or_b32 vcc_lo, s0, vcc_lo
	s_delay_alu instid0(VALU_DEP_1)
	v_lshlrev_b32_e32 v16, v16, v17
	v_add_co_ci_u32_e32 v22, vcc_lo, 0, v11, vcc_lo
	v_cmp_eq_u32_e32 vcc_lo, 0x40f, v19
	v_cndmask_b32_e32 v1, v1, v12, vcc_lo
	v_cmp_ne_u32_e32 vcc_lo, 0, v5
	v_cndmask_b32_e64 v5, 0, 1, vcc_lo
	v_cmp_ne_u32_e32 vcc_lo, v16, v20
	v_add_nc_u32_e32 v16, 0xfffffc10, v21
	v_and_or_b32 v20, 0x8000, v13, v1
	v_cvt_f32_f16_e32 v1, v2
	v_mul_f64 v[11:12], v[14:15], s[10:11]
	ds_load_b32 v14, v122 offset:25272
	v_cndmask_b32_e64 v15, 0, 1, vcc_lo
	v_cmp_gt_i32_e32 vcc_lo, 31, v18
	v_and_or_b32 v9, 0x1ff, v10, v9
	v_lshl_or_b32 v5, v5, 9, 0x7c00
	v_cvt_f64_f32_e32 v[1:2], v1
	v_or_b32_e32 v15, v17, v15
	v_cndmask_b32_e32 v19, 0x7c00, v22, vcc_lo
	v_lshl_or_b32 v17, v16, 12, v7
	v_cmp_gt_i32_e32 vcc_lo, 1, v16
	s_delay_alu instid0(VALU_DEP_2)
	v_dual_cndmask_b32 v13, v17, v15 :: v_dual_and_b32 v20, 0xffff, v20
	v_cmp_ne_u32_e32 vcc_lo, 0, v9
	v_lshrrev_b32_e32 v15, 8, v10
	v_bfe_u32 v17, v10, 20, 11
	v_lshrrev_b32_e32 v10, 16, v10
	v_cndmask_b32_e64 v9, 0, 1, vcc_lo
	s_waitcnt lgkmcnt(0)
	v_lshrrev_b32_e32 v21, 16, v14
	v_cmp_eq_u32_e32 vcc_lo, 0x40f, v18
	v_and_b32_e32 v18, 7, v13
	v_and_or_b32 v9, 0xffe, v15, v9
	v_sub_nc_u32_e32 v15, 0x3f1, v17
	v_cndmask_b32_e32 v5, v19, v5, vcc_lo
	s_delay_alu instid0(VALU_DEP_4)
	v_cmp_lt_i32_e32 vcc_lo, 5, v18
	v_cmp_eq_u32_e64 s0, 3, v18
	v_or_b32_e32 v22, 0x1000, v9
	v_med3_i32 v15, v15, 0, 13
	v_and_or_b32 v18, 0x8000, v6, v5
	v_lshrrev_b32_e32 v5, 2, v13
	s_or_b32 vcc_lo, s0, vcc_lo
	v_add_nc_u32_e32 v17, 0xfffffc10, v17
	v_lshrrev_b32_e32 v13, v15, v22
	v_and_or_b32 v11, 0x1ff, v12, v11
	v_lshl_or_b32 v18, v18, 16, v20
	s_delay_alu instid0(VALU_DEP_3) | instskip(SKIP_3) | instid1(VALU_DEP_2)
	v_lshlrev_b32_e32 v15, v15, v13
	v_mul_f64 v[1:2], v[1:2], s[10:11]
	s_waitcnt vmcnt(1)
	v_mul_f16_e32 v19, v23, v21
	v_and_or_b32 v1, 0x1ff, v2, v1
	s_waitcnt vmcnt(0)
	s_delay_alu instid0(VALU_DEP_2) | instskip(SKIP_2) | instid1(VALU_DEP_3)
	v_fmac_f16_e32 v19, v24, v14
	v_mul_f16_e32 v14, v23, v14
	v_lshrrev_b32_e32 v23, 8, v12
	v_cvt_f32_f16_e32 v6, v19
	v_add_co_ci_u32_e32 v19, vcc_lo, 0, v5, vcc_lo
	v_cmp_ne_u32_e32 vcc_lo, 0, v7
	v_fma_f16 v14, v24, v21, -v14
	s_delay_alu instid0(VALU_DEP_4)
	v_cvt_f64_f32_e32 v[5:6], v6
	v_bfe_u32 v21, v12, 20, 11
	v_lshrrev_b32_e32 v12, 16, v12
	v_cndmask_b32_e64 v7, 0, 1, vcc_lo
	v_cmp_ne_u32_e32 vcc_lo, 0, v11
	v_cvt_f32_f16_e32 v14, v14
	s_delay_alu instid0(VALU_DEP_3) | instskip(SKIP_3) | instid1(VALU_DEP_3)
	v_lshl_or_b32 v7, v7, 9, 0x7c00
	v_cndmask_b32_e64 v11, 0, 1, vcc_lo
	v_cmp_ne_u32_e32 vcc_lo, v15, v22
	v_sub_nc_u32_e32 v22, 0x3f1, v21
	v_and_or_b32 v11, 0xffe, v23, v11
	v_cndmask_b32_e64 v15, 0, 1, vcc_lo
	v_cmp_gt_i32_e32 vcc_lo, 31, v16
	v_lshl_or_b32 v23, v17, 12, v9
	v_med3_i32 v22, v22, 0, 13
	v_or_b32_e32 v24, 0x1000, v11
	v_or_b32_e32 v15, v13, v15
	v_cvt_f64_f32_e32 v[13:14], v14
	v_cndmask_b32_e32 v19, 0x7c00, v19, vcc_lo
	v_cmp_gt_i32_e32 vcc_lo, 1, v17
	v_lshrrev_b32_e32 v25, v22, v24
	v_cndmask_b32_e32 v15, v23, v15, vcc_lo
	v_add_co_u32 v3, vcc_lo, v3, s12
	v_add_co_ci_u32_e32 v4, vcc_lo, s7, v4, vcc_lo
	s_delay_alu instid0(VALU_DEP_3) | instskip(SKIP_2) | instid1(VALU_DEP_3)
	v_and_b32_e32 v23, 7, v15
	v_cmp_eq_u32_e32 vcc_lo, 0x40f, v16
	v_lshlrev_b32_e32 v22, v22, v25
	v_cmp_eq_u32_e64 s0, 3, v23
	v_cndmask_b32_e32 v16, v19, v7, vcc_lo
	v_cmp_lt_i32_e32 vcc_lo, 5, v23
	v_lshrrev_b32_e32 v7, 2, v15
	v_mul_f64 v[5:6], v[5:6], s[10:11]
	v_cmp_ne_u32_e64 s1, v22, v24
	v_lshrrev_b32_e32 v19, 16, v8
	s_or_b32 vcc_lo, s0, vcc_lo
	v_add_nc_u32_e32 v15, 0xfffffc10, v21
	v_add_co_ci_u32_e32 v7, vcc_lo, 0, v7, vcc_lo
	v_cmp_ne_u32_e32 vcc_lo, 0, v9
	v_cndmask_b32_e64 v8, 0, 1, s1
	s_delay_alu instid0(VALU_DEP_4)
	v_lshl_or_b32 v21, v15, 12, v11
	v_bfe_u32 v23, v2, 20, 11
	v_and_or_b32 v16, 0x8000, v19, v16
	v_cndmask_b32_e64 v9, 0, 1, vcc_lo
	v_cmp_gt_i32_e32 vcc_lo, 31, v17
	v_or_b32_e32 v20, v25, v8
	s_delay_alu instid0(VALU_DEP_4) | instskip(NEXT) | instid1(VALU_DEP_4)
	v_and_b32_e32 v16, 0xffff, v16
	v_lshl_or_b32 v9, v9, 9, 0x7c00
	v_cndmask_b32_e32 v22, 0x7c00, v7, vcc_lo
	v_mul_f64 v[7:8], v[13:14], s[10:11]
	v_add_co_u32 v13, vcc_lo, v3, s12
	v_add_co_ci_u32_e32 v14, vcc_lo, s7, v4, vcc_lo
	v_cmp_gt_i32_e32 vcc_lo, 1, v15
	v_cndmask_b32_e32 v20, v21, v20, vcc_lo
	v_cmp_ne_u32_e32 vcc_lo, 0, v1
	v_lshrrev_b32_e32 v21, 8, v2
	v_lshrrev_b32_e32 v2, 16, v2
	v_cndmask_b32_e64 v1, 0, 1, vcc_lo
	v_cmp_eq_u32_e32 vcc_lo, 0x40f, v17
	v_and_b32_e32 v17, 7, v20
	v_and_or_b32 v5, 0x1ff, v6, v5
	s_delay_alu instid0(VALU_DEP_4)
	v_and_or_b32 v1, 0xffe, v21, v1
	v_cndmask_b32_e32 v9, v22, v9, vcc_lo
	v_sub_nc_u32_e32 v21, 0x3f1, v23
	v_cmp_lt_i32_e32 vcc_lo, 5, v17
	v_cmp_eq_u32_e64 s0, 3, v17
	v_lshrrev_b32_e32 v17, 2, v20
	v_and_or_b32 v9, 0x8000, v10, v9
	v_or_b32_e32 v10, 0x1000, v1
	v_med3_i32 v19, v21, 0, 13
	s_or_b32 vcc_lo, s0, vcc_lo
	v_lshrrev_b32_e32 v21, 8, v6
	v_add_co_ci_u32_e32 v17, vcc_lo, 0, v17, vcc_lo
	s_delay_alu instid0(VALU_DEP_3)
	v_lshrrev_b32_e32 v20, v19, v10
	v_cmp_ne_u32_e32 vcc_lo, 0, v5
	v_bfe_u32 v22, v6, 20, 11
	v_lshrrev_b32_e32 v6, 16, v6
	v_and_or_b32 v7, 0x1ff, v8, v7
	v_lshlrev_b32_e32 v19, v19, v20
	v_cndmask_b32_e64 v5, 0, 1, vcc_lo
	v_cmp_ne_u32_e32 vcc_lo, 0, v11
	v_lshrrev_b32_e32 v24, 8, v8
	v_bfe_u32 v25, v8, 20, 11
	v_lshl_or_b32 v9, v9, 16, v16
	v_and_or_b32 v5, 0xffe, v21, v5
	v_cndmask_b32_e64 v11, 0, 1, vcc_lo
	v_cmp_ne_u32_e32 vcc_lo, v19, v10
	v_sub_nc_u32_e32 v21, 0x3f1, v22
	v_add_nc_u32_e32 v19, 0xfffffc10, v23
	v_or_b32_e32 v23, 0x1000, v5
	v_lshl_or_b32 v11, v11, 9, 0x7c00
	v_cndmask_b32_e64 v10, 0, 1, vcc_lo
	v_cmp_gt_i32_e32 vcc_lo, 31, v15
	v_med3_i32 v21, v21, 0, 13
	s_delay_alu instid0(VALU_DEP_3)
	v_or_b32_e32 v10, v20, v10
	v_cndmask_b32_e32 v17, 0x7c00, v17, vcc_lo
	v_cmp_ne_u32_e32 vcc_lo, 0, v7
	v_lshl_or_b32 v20, v19, 12, v1
	v_lshrrev_b32_e32 v26, v21, v23
	v_cndmask_b32_e64 v7, 0, 1, vcc_lo
	v_cmp_gt_i32_e32 vcc_lo, 1, v19
	s_delay_alu instid0(VALU_DEP_2)
	v_and_or_b32 v7, 0xffe, v24, v7
	v_sub_nc_u32_e32 v24, 0x3f1, v25
	v_cndmask_b32_e32 v10, v20, v10, vcc_lo
	v_lshlrev_b32_e32 v20, v21, v26
	v_cmp_eq_u32_e32 vcc_lo, 0x40f, v15
	v_or_b32_e32 v21, 0x1000, v7
	v_med3_i32 v24, v24, 0, 13
	v_and_b32_e32 v27, 7, v10
	v_lshrrev_b32_e32 v10, 2, v10
	v_cndmask_b32_e32 v11, v17, v11, vcc_lo
	v_cmp_ne_u32_e32 vcc_lo, v20, v23
	v_add_nc_u32_e32 v17, 0xfffffc10, v22
	v_lshrrev_b32_e32 v20, v24, v21
	v_cmp_eq_u32_e64 s0, 3, v27
	v_and_or_b32 v11, 0x8000, v12, v11
	v_cndmask_b32_e64 v15, 0, 1, vcc_lo
	v_lshl_or_b32 v22, v17, 12, v5
	v_lshlrev_b32_e32 v23, v24, v20
	v_cmp_gt_i32_e64 s1, 1, v17
	v_cmp_lt_i32_e32 vcc_lo, 5, v27
	v_or_b32_e32 v15, v26, v15
	v_and_b32_e32 v11, 0xffff, v11
	s_or_b32 vcc_lo, s0, vcc_lo
	s_delay_alu instid0(VALU_DEP_2) | instskip(SKIP_3) | instid1(VALU_DEP_4)
	v_cndmask_b32_e64 v15, v22, v15, s1
	v_cmp_ne_u32_e64 s1, v23, v21
	v_add_nc_u32_e32 v22, 0xfffffc10, v25
	v_add_co_ci_u32_e32 v10, vcc_lo, 0, v10, vcc_lo
	v_and_b32_e32 v23, 7, v15
	s_delay_alu instid0(VALU_DEP_4)
	v_cndmask_b32_e64 v21, 0, 1, s1
	v_cmp_ne_u32_e32 vcc_lo, 0, v1
	v_cmp_gt_i32_e64 s0, 1, v22
	v_lshrrev_b32_e32 v15, 2, v15
	v_cmp_gt_i32_e64 s1, 31, v19
	v_or_b32_e32 v20, v20, v21
	v_lshl_or_b32 v21, v22, 12, v7
	v_cndmask_b32_e64 v1, 0, 1, vcc_lo
	v_cmp_lt_i32_e32 vcc_lo, 5, v23
	v_cndmask_b32_e64 v10, 0x7c00, v10, s1
	v_cmp_eq_u32_e64 s1, 0x40f, v19
	v_cndmask_b32_e64 v12, v21, v20, s0
	v_cmp_eq_u32_e64 s0, 3, v23
	v_lshl_or_b32 v1, v1, 9, 0x7c00
	s_delay_alu instid0(VALU_DEP_3) | instskip(NEXT) | instid1(VALU_DEP_3)
	v_and_b32_e32 v20, 7, v12
	s_or_b32 vcc_lo, s0, vcc_lo
	s_delay_alu instid0(VALU_DEP_2)
	v_cndmask_b32_e64 v1, v10, v1, s1
	v_add_co_ci_u32_e32 v15, vcc_lo, 0, v15, vcc_lo
	v_cmp_ne_u32_e32 vcc_lo, 0, v5
	v_cmp_eq_u32_e64 s0, 3, v20
	v_lshrrev_b32_e32 v10, 2, v12
	v_cmp_gt_i32_e64 s1, 31, v17
	v_cndmask_b32_e64 v5, 0, 1, vcc_lo
	v_cmp_lt_i32_e32 vcc_lo, 5, v20
	s_delay_alu instid0(VALU_DEP_3) | instskip(NEXT) | instid1(VALU_DEP_3)
	v_cndmask_b32_e64 v12, 0x7c00, v15, s1
	v_lshl_or_b32 v5, v5, 9, 0x7c00
	s_or_b32 vcc_lo, s0, vcc_lo
	v_add_co_ci_u32_e32 v10, vcc_lo, 0, v10, vcc_lo
	v_cmp_ne_u32_e32 vcc_lo, 0, v7
	v_cndmask_b32_e64 v7, 0, 1, vcc_lo
	v_cmp_eq_u32_e32 vcc_lo, 0x40f, v17
	s_delay_alu instid0(VALU_DEP_2) | instskip(SKIP_3) | instid1(VALU_DEP_3)
	v_lshl_or_b32 v7, v7, 9, 0x7c00
	v_cndmask_b32_e32 v5, v12, v5, vcc_lo
	v_cmp_gt_i32_e32 vcc_lo, 31, v22
	v_and_or_b32 v12, 0x8000, v2, v1
	v_and_or_b32 v5, 0x8000, v6, v5
	v_cndmask_b32_e32 v10, 0x7c00, v10, vcc_lo
	v_cmp_eq_u32_e32 vcc_lo, 0x40f, v22
	s_delay_alu instid0(VALU_DEP_2) | instskip(SKIP_3) | instid1(VALU_DEP_3)
	v_cndmask_b32_e32 v6, v10, v7, vcc_lo
	v_lshrrev_b32_e32 v7, 16, v8
	v_add_co_u32 v1, vcc_lo, v13, s8
	v_add_co_ci_u32_e32 v2, vcc_lo, s9, v14, vcc_lo
	v_and_or_b32 v7, 0x8000, v7, v6
	v_and_b32_e32 v8, 0xffff, v5
	s_delay_alu instid0(VALU_DEP_4) | instskip(NEXT) | instid1(VALU_DEP_4)
	v_add_co_u32 v5, vcc_lo, v1, s12
	v_add_co_ci_u32_e32 v6, vcc_lo, s7, v2, vcc_lo
	v_lshl_or_b32 v10, v12, 16, v11
	s_delay_alu instid0(VALU_DEP_4) | instskip(NEXT) | instid1(VALU_DEP_4)
	v_lshl_or_b32 v11, v7, 16, v8
	v_add_co_u32 v7, vcc_lo, v5, s12
	s_delay_alu instid0(VALU_DEP_4)
	v_add_co_ci_u32_e32 v8, vcc_lo, s7, v6, vcc_lo
	global_store_b32 v[3:4], v0, off
	global_store_b32 v[13:14], v18, off
	;; [unrolled: 1-line block ×5, first 2 shown]
.LBB0_2:
	s_nop 0
	s_sendmsg sendmsg(MSG_DEALLOC_VGPRS)
	s_endpgm
	.section	.rodata,"a",@progbits
	.p2align	6, 0x0
	.amdhsa_kernel bluestein_single_fwd_len6561_dim1_half_op_CI_CI
		.amdhsa_group_segment_fixed_size 26244
		.amdhsa_private_segment_fixed_size 416
		.amdhsa_kernarg_size 104
		.amdhsa_user_sgpr_count 15
		.amdhsa_user_sgpr_dispatch_ptr 0
		.amdhsa_user_sgpr_queue_ptr 0
		.amdhsa_user_sgpr_kernarg_segment_ptr 1
		.amdhsa_user_sgpr_dispatch_id 0
		.amdhsa_user_sgpr_private_segment_size 0
		.amdhsa_wavefront_size32 1
		.amdhsa_uses_dynamic_stack 0
		.amdhsa_enable_private_segment 1
		.amdhsa_system_sgpr_workgroup_id_x 1
		.amdhsa_system_sgpr_workgroup_id_y 0
		.amdhsa_system_sgpr_workgroup_id_z 0
		.amdhsa_system_sgpr_workgroup_info 0
		.amdhsa_system_vgpr_workitem_id 0
		.amdhsa_next_free_vgpr 256
		.amdhsa_next_free_sgpr 20
		.amdhsa_reserve_vcc 1
		.amdhsa_float_round_mode_32 0
		.amdhsa_float_round_mode_16_64 0
		.amdhsa_float_denorm_mode_32 3
		.amdhsa_float_denorm_mode_16_64 3
		.amdhsa_dx10_clamp 1
		.amdhsa_ieee_mode 1
		.amdhsa_fp16_overflow 0
		.amdhsa_workgroup_processor_mode 1
		.amdhsa_memory_ordered 1
		.amdhsa_forward_progress 0
		.amdhsa_shared_vgpr_count 0
		.amdhsa_exception_fp_ieee_invalid_op 0
		.amdhsa_exception_fp_denorm_src 0
		.amdhsa_exception_fp_ieee_div_zero 0
		.amdhsa_exception_fp_ieee_overflow 0
		.amdhsa_exception_fp_ieee_underflow 0
		.amdhsa_exception_fp_ieee_inexact 0
		.amdhsa_exception_int_div_zero 0
	.end_amdhsa_kernel
	.text
.Lfunc_end0:
	.size	bluestein_single_fwd_len6561_dim1_half_op_CI_CI, .Lfunc_end0-bluestein_single_fwd_len6561_dim1_half_op_CI_CI
                                        ; -- End function
	.section	.AMDGPU.csdata,"",@progbits
; Kernel info:
; codeLenInByte = 60896
; NumSgprs: 22
; NumVgprs: 256
; ScratchSize: 416
; MemoryBound: 0
; FloatMode: 240
; IeeeMode: 1
; LDSByteSize: 26244 bytes/workgroup (compile time only)
; SGPRBlocks: 2
; VGPRBlocks: 31
; NumSGPRsForWavesPerEU: 22
; NumVGPRsForWavesPerEU: 256
; Occupancy: 5
; WaveLimiterHint : 1
; COMPUTE_PGM_RSRC2:SCRATCH_EN: 1
; COMPUTE_PGM_RSRC2:USER_SGPR: 15
; COMPUTE_PGM_RSRC2:TRAP_HANDLER: 0
; COMPUTE_PGM_RSRC2:TGID_X_EN: 1
; COMPUTE_PGM_RSRC2:TGID_Y_EN: 0
; COMPUTE_PGM_RSRC2:TGID_Z_EN: 0
; COMPUTE_PGM_RSRC2:TIDIG_COMP_CNT: 0
	.text
	.p2alignl 7, 3214868480
	.fill 96, 4, 3214868480
	.type	__hip_cuid_b0af05ee3f905a29,@object ; @__hip_cuid_b0af05ee3f905a29
	.section	.bss,"aw",@nobits
	.globl	__hip_cuid_b0af05ee3f905a29
__hip_cuid_b0af05ee3f905a29:
	.byte	0                               ; 0x0
	.size	__hip_cuid_b0af05ee3f905a29, 1

	.ident	"AMD clang version 19.0.0git (https://github.com/RadeonOpenCompute/llvm-project roc-6.4.0 25133 c7fe45cf4b819c5991fe208aaa96edf142730f1d)"
	.section	".note.GNU-stack","",@progbits
	.addrsig
	.addrsig_sym __hip_cuid_b0af05ee3f905a29
	.amdgpu_metadata
---
amdhsa.kernels:
  - .args:
      - .actual_access:  read_only
        .address_space:  global
        .offset:         0
        .size:           8
        .value_kind:     global_buffer
      - .actual_access:  read_only
        .address_space:  global
        .offset:         8
        .size:           8
        .value_kind:     global_buffer
      - .actual_access:  read_only
        .address_space:  global
        .offset:         16
        .size:           8
        .value_kind:     global_buffer
      - .actual_access:  read_only
        .address_space:  global
        .offset:         24
        .size:           8
        .value_kind:     global_buffer
      - .actual_access:  read_only
        .address_space:  global
        .offset:         32
        .size:           8
        .value_kind:     global_buffer
      - .offset:         40
        .size:           8
        .value_kind:     by_value
      - .address_space:  global
        .offset:         48
        .size:           8
        .value_kind:     global_buffer
      - .address_space:  global
        .offset:         56
        .size:           8
        .value_kind:     global_buffer
      - .address_space:  global
        .offset:         64
        .size:           8
        .value_kind:     global_buffer
      - .address_space:  global
        .offset:         72
        .size:           8
        .value_kind:     global_buffer
      - .offset:         80
        .size:           4
        .value_kind:     by_value
      - .address_space:  global
        .offset:         88
        .size:           8
        .value_kind:     global_buffer
      - .address_space:  global
        .offset:         96
        .size:           8
        .value_kind:     global_buffer
    .group_segment_fixed_size: 26244
    .kernarg_segment_align: 8
    .kernarg_segment_size: 104
    .language:       OpenCL C
    .language_version:
      - 2
      - 0
    .max_flat_workgroup_size: 243
    .name:           bluestein_single_fwd_len6561_dim1_half_op_CI_CI
    .private_segment_fixed_size: 416
    .sgpr_count:     22
    .sgpr_spill_count: 0
    .symbol:         bluestein_single_fwd_len6561_dim1_half_op_CI_CI.kd
    .uniform_work_group_size: 1
    .uses_dynamic_stack: false
    .vgpr_count:     256
    .vgpr_spill_count: 103
    .wavefront_size: 32
    .workgroup_processor_mode: 1
amdhsa.target:   amdgcn-amd-amdhsa--gfx1100
amdhsa.version:
  - 1
  - 2
...

	.end_amdgpu_metadata
